;; amdgpu-corpus repo=pytorch/pytorch kind=compiled arch=gfx1100 opt=O3
	.text
	.amdgcn_target "amdgcn-amd-amdhsa--gfx1100"
	.amdhsa_code_object_version 6
	.section	.text._ZN2at6native12_GLOBAL__N_135nll_loss2d_forward_no_reduce_kernelIdEEvlN5torch10headeronly6detail27GenericPackedTensorAccessorINS5_14TensorAccessorIN3c108ArrayRefIlEET_Lm3ENS4_16DefaultPtrTraitsElEENS_6detail16IndexBoundsCheckILm4ElEESB_Lm4ESC_lEENS6_INS7_ISA_lLm2ESC_lEENSF_ILm3ElEElLm3ESC_lEENS6_INS7_ISA_SB_Lm2ESC_lEESJ_SB_Lm3ESC_lEEPKSB_l,"axG",@progbits,_ZN2at6native12_GLOBAL__N_135nll_loss2d_forward_no_reduce_kernelIdEEvlN5torch10headeronly6detail27GenericPackedTensorAccessorINS5_14TensorAccessorIN3c108ArrayRefIlEET_Lm3ENS4_16DefaultPtrTraitsElEENS_6detail16IndexBoundsCheckILm4ElEESB_Lm4ESC_lEENS6_INS7_ISA_lLm2ESC_lEENSF_ILm3ElEElLm3ESC_lEENS6_INS7_ISA_SB_Lm2ESC_lEESJ_SB_Lm3ESC_lEEPKSB_l,comdat
	.globl	_ZN2at6native12_GLOBAL__N_135nll_loss2d_forward_no_reduce_kernelIdEEvlN5torch10headeronly6detail27GenericPackedTensorAccessorINS5_14TensorAccessorIN3c108ArrayRefIlEET_Lm3ENS4_16DefaultPtrTraitsElEENS_6detail16IndexBoundsCheckILm4ElEESB_Lm4ESC_lEENS6_INS7_ISA_lLm2ESC_lEENSF_ILm3ElEElLm3ESC_lEENS6_INS7_ISA_SB_Lm2ESC_lEESJ_SB_Lm3ESC_lEEPKSB_l ; -- Begin function _ZN2at6native12_GLOBAL__N_135nll_loss2d_forward_no_reduce_kernelIdEEvlN5torch10headeronly6detail27GenericPackedTensorAccessorINS5_14TensorAccessorIN3c108ArrayRefIlEET_Lm3ENS4_16DefaultPtrTraitsElEENS_6detail16IndexBoundsCheckILm4ElEESB_Lm4ESC_lEENS6_INS7_ISA_lLm2ESC_lEENSF_ILm3ElEElLm3ESC_lEENS6_INS7_ISA_SB_Lm2ESC_lEESJ_SB_Lm3ESC_lEEPKSB_l
	.p2align	8
	.type	_ZN2at6native12_GLOBAL__N_135nll_loss2d_forward_no_reduce_kernelIdEEvlN5torch10headeronly6detail27GenericPackedTensorAccessorINS5_14TensorAccessorIN3c108ArrayRefIlEET_Lm3ENS4_16DefaultPtrTraitsElEENS_6detail16IndexBoundsCheckILm4ElEESB_Lm4ESC_lEENS6_INS7_ISA_lLm2ESC_lEENSF_ILm3ElEElLm3ESC_lEENS6_INS7_ISA_SB_Lm2ESC_lEESJ_SB_Lm3ESC_lEEPKSB_l,@function
_ZN2at6native12_GLOBAL__N_135nll_loss2d_forward_no_reduce_kernelIdEEvlN5torch10headeronly6detail27GenericPackedTensorAccessorINS5_14TensorAccessorIN3c108ArrayRefIlEET_Lm3ENS4_16DefaultPtrTraitsElEENS_6detail16IndexBoundsCheckILm4ElEESB_Lm4ESC_lEENS6_INS7_ISA_lLm2ESC_lEENSF_ILm3ElEElLm3ESC_lEENS6_INS7_ISA_SB_Lm2ESC_lEESJ_SB_Lm3ESC_lEEPKSB_l: ; @_ZN2at6native12_GLOBAL__N_135nll_loss2d_forward_no_reduce_kernelIdEEvlN5torch10headeronly6detail27GenericPackedTensorAccessorINS5_14TensorAccessorIN3c108ArrayRefIlEET_Lm3ENS4_16DefaultPtrTraitsElEENS_6detail16IndexBoundsCheckILm4ElEESB_Lm4ESC_lEENS6_INS7_ISA_lLm2ESC_lEENSF_ILm3ElEElLm3ESC_lEENS6_INS7_ISA_SB_Lm2ESC_lEESJ_SB_Lm3ESC_lEEPKSB_l
; %bb.0:
	s_clause 0x1
	s_load_b32 s4, s[0:1], 0xdc
	s_load_b64 s[2:3], s[0:1], 0x0
	v_mov_b32_e32 v2, 0
	s_add_u32 s20, s0, 0xd0
	s_addc_u32 s21, s1, 0
	s_delay_alu instid0(VALU_DEP_1) | instskip(SKIP_3) | instid1(VALU_DEP_1)
	v_mov_b32_e32 v1, v2
	s_waitcnt lgkmcnt(0)
	s_and_b32 s44, s4, 0xffff
	s_mov_b32 s4, exec_lo
	v_mad_u64_u32 v[4:5], null, s44, s15, v[0:1]
	s_delay_alu instid0(VALU_DEP_1)
	v_cmpx_gt_i64_e64 s[2:3], v[4:5]
	s_cbranch_execz .LBB0_29
; %bb.1:
	s_clause 0x3
	s_load_b256 s[4:11], s[0:1], 0x10
	s_load_b128 s[28:31], s[0:1], 0xc0
	s_load_b64 s[34:35], s[0:1], 0x8
	s_load_b256 s[12:19], s[0:1], 0x30
	s_load_b32 s45, s[20:21], 0x0
	s_clause 0x3
	s_load_b64 s[40:41], s[0:1], 0x50
	s_load_b256 s[20:27], s[0:1], 0x70
	s_load_b64 s[42:43], s[0:1], 0xb8
	s_load_b128 s[36:39], s[0:1], 0xa8
	s_mov_b32 s49, 0
                                        ; implicit-def: $sgpr51
                                        ; implicit-def: $sgpr53
	s_waitcnt lgkmcnt(0)
	v_cvt_f32_u32_e32 v0, s4
	s_mul_i32 s0, s8, s5
	s_mul_hi_u32 s1, s8, s4
	s_mul_i32 s33, s9, s4
	s_add_i32 s0, s1, s0
	v_rcp_iflag_f32_e32 v0, v0
	v_mov_b32_e32 v3, v4
	s_add_i32 s1, s0, s33
	s_cmp_lg_u64 s[28:29], 0
	s_mul_i32 s50, s45, s44
	s_mul_i32 s33, s8, s4
	s_cselect_b32 s48, -1, 0
	s_mov_b32 s52, s50
	s_waitcnt_depctr 0xfff
	v_mul_f32_e32 v0, 0x4f7ffffe, v0
	s_delay_alu instid0(VALU_DEP_1)
	v_cvt_u32_f32_e32 v14, v0
	v_dual_mov_b32 v0, v2 :: v_dual_mov_b32 v1, v3
	s_branch .LBB0_3
.LBB0_2:                                ;   in Loop: Header=BB0_3 Depth=1
	s_or_b32 exec_lo, exec_lo, s45
	s_delay_alu instid0(SALU_CYCLE_1) | instskip(NEXT) | instid1(SALU_CYCLE_1)
	s_and_b32 s0, exec_lo, s44
	s_or_b32 s49, s0, s49
	s_and_not1_b32 s0, s51, exec_lo
	s_and_b32 s44, s53, exec_lo
	s_delay_alu instid0(SALU_CYCLE_1)
	s_or_b32 s51, s0, s44
	s_and_not1_b32 exec_lo, exec_lo, s49
	s_cbranch_execz .LBB0_28
.LBB0_3:                                ; =>This Inner Loop Header: Depth=1
	s_delay_alu instid0(VALU_DEP_1) | instskip(SKIP_2) | instid1(VALU_DEP_2)
	v_ashrrev_i32_e32 v15, 31, v1
	v_mov_b32_e32 v16, v1
                                        ; implicit-def: $vgpr6_vgpr7
	s_mov_b32 s0, exec_lo
	v_or_b32_e32 v3, s5, v15
	s_delay_alu instid0(VALU_DEP_1)
	v_cmpx_ne_u64_e32 0, v[2:3]
	s_xor_b32 s54, exec_lo, s0
	s_cbranch_execz .LBB0_5
; %bb.4:                                ;   in Loop: Header=BB0_3 Depth=1
	s_ashr_i32 s44, s5, 31
	s_delay_alu instid0(SALU_CYCLE_1) | instskip(SKIP_2) | instid1(SALU_CYCLE_1)
	s_add_u32 s46, s4, s44
	s_mov_b32 s45, s44
	s_addc_u32 s47, s5, s44
	s_xor_b64 s[46:47], s[46:47], s[44:45]
	s_delay_alu instid0(SALU_CYCLE_1) | instskip(SKIP_3) | instid1(VALU_DEP_1)
	v_cvt_f32_u32_e32 v3, s46
	v_cvt_f32_u32_e32 v6, s47
	s_sub_u32 s0, 0, s46
	s_subb_u32 s45, 0, s47
	v_fmac_f32_e32 v3, 0x4f800000, v6
	s_delay_alu instid0(VALU_DEP_1) | instskip(SKIP_2) | instid1(VALU_DEP_1)
	v_rcp_f32_e32 v3, v3
	s_waitcnt_depctr 0xfff
	v_mul_f32_e32 v3, 0x5f7ffffc, v3
	v_mul_f32_e32 v6, 0x2f800000, v3
	s_delay_alu instid0(VALU_DEP_1) | instskip(NEXT) | instid1(VALU_DEP_1)
	v_trunc_f32_e32 v6, v6
	v_fmac_f32_e32 v3, 0xcf800000, v6
	v_cvt_u32_f32_e32 v6, v6
	s_delay_alu instid0(VALU_DEP_2) | instskip(NEXT) | instid1(VALU_DEP_2)
	v_cvt_u32_f32_e32 v3, v3
	v_mul_lo_u32 v7, s0, v6
	s_delay_alu instid0(VALU_DEP_2) | instskip(SKIP_1) | instid1(VALU_DEP_2)
	v_mul_hi_u32 v8, s0, v3
	v_mul_lo_u32 v9, s45, v3
	v_add_nc_u32_e32 v7, v8, v7
	v_mul_lo_u32 v8, s0, v3
	s_delay_alu instid0(VALU_DEP_2) | instskip(NEXT) | instid1(VALU_DEP_2)
	v_add_nc_u32_e32 v7, v7, v9
	v_mul_hi_u32 v9, v3, v8
	s_delay_alu instid0(VALU_DEP_2)
	v_mul_lo_u32 v10, v3, v7
	v_mul_hi_u32 v11, v3, v7
	v_mul_hi_u32 v12, v6, v8
	v_mul_lo_u32 v8, v6, v8
	v_mul_hi_u32 v13, v6, v7
	v_mul_lo_u32 v7, v6, v7
	v_add_co_u32 v9, vcc_lo, v9, v10
	v_add_co_ci_u32_e32 v10, vcc_lo, 0, v11, vcc_lo
	s_delay_alu instid0(VALU_DEP_2) | instskip(NEXT) | instid1(VALU_DEP_2)
	v_add_co_u32 v8, vcc_lo, v9, v8
	v_add_co_ci_u32_e32 v8, vcc_lo, v10, v12, vcc_lo
	v_add_co_ci_u32_e32 v9, vcc_lo, 0, v13, vcc_lo
	v_ashrrev_i32_e32 v12, 31, v15
	s_delay_alu instid0(VALU_DEP_3) | instskip(NEXT) | instid1(VALU_DEP_3)
	v_add_co_u32 v7, vcc_lo, v8, v7
	v_add_co_ci_u32_e32 v8, vcc_lo, 0, v9, vcc_lo
	s_delay_alu instid0(VALU_DEP_2) | instskip(NEXT) | instid1(VALU_DEP_2)
	v_add_co_u32 v3, vcc_lo, v3, v7
	v_add_co_ci_u32_e32 v6, vcc_lo, v6, v8, vcc_lo
	s_delay_alu instid0(VALU_DEP_2) | instskip(SKIP_1) | instid1(VALU_DEP_3)
	v_mul_hi_u32 v7, s0, v3
	v_mul_lo_u32 v9, s45, v3
	v_mul_lo_u32 v8, s0, v6
	s_delay_alu instid0(VALU_DEP_1) | instskip(SKIP_1) | instid1(VALU_DEP_2)
	v_add_nc_u32_e32 v7, v7, v8
	v_mul_lo_u32 v8, s0, v3
	v_add_nc_u32_e32 v7, v7, v9
	s_delay_alu instid0(VALU_DEP_2) | instskip(NEXT) | instid1(VALU_DEP_2)
	v_mul_hi_u32 v9, v3, v8
	v_mul_lo_u32 v10, v3, v7
	v_mul_hi_u32 v11, v3, v7
	v_mul_hi_u32 v13, v6, v8
	v_mul_lo_u32 v8, v6, v8
	v_mul_hi_u32 v17, v6, v7
	v_mul_lo_u32 v7, v6, v7
	v_add_co_u32 v9, vcc_lo, v9, v10
	v_add_co_ci_u32_e32 v10, vcc_lo, 0, v11, vcc_lo
	s_delay_alu instid0(VALU_DEP_2) | instskip(NEXT) | instid1(VALU_DEP_2)
	v_add_co_u32 v8, vcc_lo, v9, v8
	v_add_co_ci_u32_e32 v8, vcc_lo, v10, v13, vcc_lo
	v_add_co_ci_u32_e32 v9, vcc_lo, 0, v17, vcc_lo
	v_add_co_u32 v10, vcc_lo, v16, v12
	v_add_co_ci_u32_e32 v11, vcc_lo, v15, v12, vcc_lo
	s_delay_alu instid0(VALU_DEP_4) | instskip(NEXT) | instid1(VALU_DEP_4)
	v_add_co_u32 v7, vcc_lo, v8, v7
	v_add_co_ci_u32_e32 v8, vcc_lo, 0, v9, vcc_lo
	s_delay_alu instid0(VALU_DEP_4) | instskip(NEXT) | instid1(VALU_DEP_3)
	v_xor_b32_e32 v13, v10, v12
	v_add_co_u32 v3, vcc_lo, v3, v7
	s_delay_alu instid0(VALU_DEP_3) | instskip(SKIP_1) | instid1(VALU_DEP_3)
	v_add_co_ci_u32_e32 v17, vcc_lo, v6, v8, vcc_lo
	v_xor_b32_e32 v18, v11, v12
	v_mul_hi_u32 v19, v13, v3
	s_delay_alu instid0(VALU_DEP_3) | instskip(NEXT) | instid1(VALU_DEP_3)
	v_mad_u64_u32 v[6:7], null, v13, v17, 0
	v_mad_u64_u32 v[8:9], null, v18, v3, 0
	;; [unrolled: 1-line block ×3, first 2 shown]
	s_delay_alu instid0(VALU_DEP_3) | instskip(NEXT) | instid1(VALU_DEP_4)
	v_add_co_u32 v3, vcc_lo, v19, v6
	v_add_co_ci_u32_e32 v6, vcc_lo, 0, v7, vcc_lo
	s_delay_alu instid0(VALU_DEP_2) | instskip(NEXT) | instid1(VALU_DEP_2)
	v_add_co_u32 v3, vcc_lo, v3, v8
	v_add_co_ci_u32_e32 v3, vcc_lo, v6, v9, vcc_lo
	v_add_co_ci_u32_e32 v6, vcc_lo, 0, v11, vcc_lo
	s_delay_alu instid0(VALU_DEP_2) | instskip(NEXT) | instid1(VALU_DEP_2)
	v_add_co_u32 v3, vcc_lo, v3, v10
	v_add_co_ci_u32_e32 v8, vcc_lo, 0, v6, vcc_lo
	s_delay_alu instid0(VALU_DEP_2) | instskip(SKIP_1) | instid1(VALU_DEP_3)
	v_mul_lo_u32 v9, s47, v3
	v_mad_u64_u32 v[6:7], null, s46, v3, 0
	v_mul_lo_u32 v10, s46, v8
	s_delay_alu instid0(VALU_DEP_2) | instskip(NEXT) | instid1(VALU_DEP_2)
	v_sub_co_u32 v6, vcc_lo, v13, v6
	v_add3_u32 v7, v7, v10, v9
	s_delay_alu instid0(VALU_DEP_1) | instskip(NEXT) | instid1(VALU_DEP_1)
	v_sub_nc_u32_e32 v9, v18, v7
	v_subrev_co_ci_u32_e64 v9, s0, s47, v9, vcc_lo
	v_add_co_u32 v10, s0, v3, 2
	s_delay_alu instid0(VALU_DEP_1) | instskip(SKIP_3) | instid1(VALU_DEP_3)
	v_add_co_ci_u32_e64 v11, s0, 0, v8, s0
	v_sub_co_u32 v13, s0, v6, s46
	v_sub_co_ci_u32_e32 v7, vcc_lo, v18, v7, vcc_lo
	v_subrev_co_ci_u32_e64 v9, s0, 0, v9, s0
	v_cmp_le_u32_e32 vcc_lo, s46, v13
	s_delay_alu instid0(VALU_DEP_3) | instskip(SKIP_1) | instid1(VALU_DEP_4)
	v_cmp_eq_u32_e64 s0, s47, v7
	v_cndmask_b32_e64 v13, 0, -1, vcc_lo
	v_cmp_le_u32_e32 vcc_lo, s47, v9
	v_cndmask_b32_e64 v17, 0, -1, vcc_lo
	v_cmp_le_u32_e32 vcc_lo, s46, v6
	;; [unrolled: 2-line block ×3, first 2 shown]
	v_cndmask_b32_e64 v18, 0, -1, vcc_lo
	v_cmp_eq_u32_e32 vcc_lo, s47, v9
	s_delay_alu instid0(VALU_DEP_2) | instskip(SKIP_3) | instid1(VALU_DEP_3)
	v_cndmask_b32_e64 v6, v18, v6, s0
	v_cndmask_b32_e32 v9, v17, v13, vcc_lo
	v_add_co_u32 v13, vcc_lo, v3, 1
	v_add_co_ci_u32_e32 v17, vcc_lo, 0, v8, vcc_lo
	v_cmp_ne_u32_e32 vcc_lo, 0, v9
	s_delay_alu instid0(VALU_DEP_2) | instskip(NEXT) | instid1(VALU_DEP_4)
	v_cndmask_b32_e32 v7, v17, v11, vcc_lo
	v_cndmask_b32_e32 v9, v13, v10, vcc_lo
	v_cmp_ne_u32_e32 vcc_lo, 0, v6
	v_xor_b32_e32 v10, s44, v12
	s_delay_alu instid0(VALU_DEP_3) | instskip(NEXT) | instid1(VALU_DEP_1)
	v_dual_cndmask_b32 v3, v3, v9 :: v_dual_cndmask_b32 v6, v8, v7
	v_xor_b32_e32 v3, v3, v10
	s_delay_alu instid0(VALU_DEP_2) | instskip(NEXT) | instid1(VALU_DEP_2)
	v_xor_b32_e32 v7, v6, v10
	v_sub_co_u32 v6, vcc_lo, v3, v10
	s_delay_alu instid0(VALU_DEP_2)
	v_sub_co_ci_u32_e32 v7, vcc_lo, v7, v10, vcc_lo
.LBB0_5:                                ;   in Loop: Header=BB0_3 Depth=1
	s_and_not1_saveexec_b32 s0, s54
	s_cbranch_execz .LBB0_7
; %bb.6:                                ;   in Loop: Header=BB0_3 Depth=1
	s_sub_i32 s44, 0, s4
	s_delay_alu instid0(SALU_CYCLE_1) | instskip(NEXT) | instid1(VALU_DEP_1)
	v_mul_lo_u32 v3, s44, v14
	v_mul_hi_u32 v3, v14, v3
	s_delay_alu instid0(VALU_DEP_1) | instskip(NEXT) | instid1(VALU_DEP_1)
	v_add_nc_u32_e32 v3, v14, v3
	v_mul_hi_u32 v3, v16, v3
	s_delay_alu instid0(VALU_DEP_1) | instskip(NEXT) | instid1(VALU_DEP_1)
	v_mul_lo_u32 v6, v3, s4
	v_sub_nc_u32_e32 v6, v16, v6
	s_delay_alu instid0(VALU_DEP_1) | instskip(SKIP_1) | instid1(VALU_DEP_2)
	v_subrev_nc_u32_e32 v8, s4, v6
	v_cmp_le_u32_e32 vcc_lo, s4, v6
	v_dual_cndmask_b32 v6, v6, v8 :: v_dual_add_nc_u32 v7, 1, v3
	s_delay_alu instid0(VALU_DEP_1) | instskip(NEXT) | instid1(VALU_DEP_2)
	v_cndmask_b32_e32 v3, v3, v7, vcc_lo
	v_cmp_le_u32_e32 vcc_lo, s4, v6
	s_delay_alu instid0(VALU_DEP_2) | instskip(NEXT) | instid1(VALU_DEP_1)
	v_add_nc_u32_e32 v7, 1, v3
	v_dual_cndmask_b32 v6, v3, v7 :: v_dual_mov_b32 v7, v2
.LBB0_7:                                ;   in Loop: Header=BB0_3 Depth=1
	s_or_b32 exec_lo, exec_lo, s0
	s_delay_alu instid0(VALU_DEP_1) | instskip(SKIP_1) | instid1(VALU_DEP_1)
	v_or_b32_e32 v3, s9, v7
                                        ; implicit-def: $vgpr8_vgpr9
	s_mov_b32 s0, exec_lo
	v_cmpx_ne_u64_e32 0, v[2:3]
	s_xor_b32 s46, exec_lo, s0
	s_cbranch_execz .LBB0_9
; %bb.8:                                ;   in Loop: Header=BB0_3 Depth=1
	s_ashr_i32 s44, s9, 31
	s_delay_alu instid0(SALU_CYCLE_1) | instskip(SKIP_2) | instid1(SALU_CYCLE_1)
	s_add_u32 s54, s8, s44
	s_mov_b32 s45, s44
	s_addc_u32 s55, s9, s44
	s_xor_b64 s[44:45], s[54:55], s[44:45]
	s_delay_alu instid0(SALU_CYCLE_1) | instskip(SKIP_3) | instid1(VALU_DEP_1)
	v_cvt_f32_u32_e32 v3, s44
	v_cvt_f32_u32_e32 v8, s45
	s_sub_u32 s0, 0, s44
	s_subb_u32 s47, 0, s45
	v_fmac_f32_e32 v3, 0x4f800000, v8
	s_delay_alu instid0(VALU_DEP_1) | instskip(SKIP_2) | instid1(VALU_DEP_1)
	v_rcp_f32_e32 v3, v3
	s_waitcnt_depctr 0xfff
	v_mul_f32_e32 v3, 0x5f7ffffc, v3
	v_mul_f32_e32 v8, 0x2f800000, v3
	s_delay_alu instid0(VALU_DEP_1) | instskip(NEXT) | instid1(VALU_DEP_1)
	v_trunc_f32_e32 v8, v8
	v_fmac_f32_e32 v3, 0xcf800000, v8
	v_cvt_u32_f32_e32 v8, v8
	s_delay_alu instid0(VALU_DEP_2) | instskip(NEXT) | instid1(VALU_DEP_2)
	v_cvt_u32_f32_e32 v3, v3
	v_mul_lo_u32 v9, s0, v8
	s_delay_alu instid0(VALU_DEP_2) | instskip(SKIP_1) | instid1(VALU_DEP_2)
	v_mul_hi_u32 v10, s0, v3
	v_mul_lo_u32 v11, s47, v3
	v_add_nc_u32_e32 v9, v10, v9
	v_mul_lo_u32 v10, s0, v3
	s_delay_alu instid0(VALU_DEP_2) | instskip(NEXT) | instid1(VALU_DEP_2)
	v_add_nc_u32_e32 v9, v9, v11
	v_mul_hi_u32 v11, v3, v10
	s_delay_alu instid0(VALU_DEP_2)
	v_mul_lo_u32 v12, v3, v9
	v_mul_hi_u32 v13, v3, v9
	v_mul_hi_u32 v17, v8, v10
	v_mul_lo_u32 v10, v8, v10
	v_mul_hi_u32 v18, v8, v9
	v_mul_lo_u32 v9, v8, v9
	v_add_co_u32 v11, vcc_lo, v11, v12
	v_add_co_ci_u32_e32 v12, vcc_lo, 0, v13, vcc_lo
	s_delay_alu instid0(VALU_DEP_2) | instskip(NEXT) | instid1(VALU_DEP_2)
	v_add_co_u32 v10, vcc_lo, v11, v10
	v_add_co_ci_u32_e32 v10, vcc_lo, v12, v17, vcc_lo
	v_add_co_ci_u32_e32 v11, vcc_lo, 0, v18, vcc_lo
	v_ashrrev_i32_e32 v17, 31, v7
	s_delay_alu instid0(VALU_DEP_3) | instskip(NEXT) | instid1(VALU_DEP_3)
	v_add_co_u32 v9, vcc_lo, v10, v9
	v_add_co_ci_u32_e32 v10, vcc_lo, 0, v11, vcc_lo
	s_delay_alu instid0(VALU_DEP_2) | instskip(NEXT) | instid1(VALU_DEP_2)
	v_add_co_u32 v3, vcc_lo, v3, v9
	v_add_co_ci_u32_e32 v8, vcc_lo, v8, v10, vcc_lo
	s_delay_alu instid0(VALU_DEP_2) | instskip(SKIP_1) | instid1(VALU_DEP_3)
	v_mul_hi_u32 v9, s0, v3
	v_mul_lo_u32 v11, s47, v3
	v_mul_lo_u32 v10, s0, v8
	s_delay_alu instid0(VALU_DEP_1) | instskip(SKIP_1) | instid1(VALU_DEP_2)
	v_add_nc_u32_e32 v9, v9, v10
	v_mul_lo_u32 v10, s0, v3
	v_add_nc_u32_e32 v9, v9, v11
	s_delay_alu instid0(VALU_DEP_2) | instskip(NEXT) | instid1(VALU_DEP_2)
	v_mul_hi_u32 v11, v3, v10
	v_mul_lo_u32 v12, v3, v9
	v_mul_hi_u32 v13, v3, v9
	v_mul_hi_u32 v18, v8, v10
	v_mul_lo_u32 v10, v8, v10
	v_mul_hi_u32 v19, v8, v9
	v_mul_lo_u32 v9, v8, v9
	v_add_co_u32 v11, vcc_lo, v11, v12
	v_add_co_ci_u32_e32 v12, vcc_lo, 0, v13, vcc_lo
	s_delay_alu instid0(VALU_DEP_2) | instskip(NEXT) | instid1(VALU_DEP_2)
	v_add_co_u32 v10, vcc_lo, v11, v10
	v_add_co_ci_u32_e32 v10, vcc_lo, v12, v18, vcc_lo
	v_add_co_ci_u32_e32 v11, vcc_lo, 0, v19, vcc_lo
	v_add_co_u32 v12, vcc_lo, v6, v17
	v_add_co_ci_u32_e32 v13, vcc_lo, v7, v17, vcc_lo
	s_delay_alu instid0(VALU_DEP_4) | instskip(NEXT) | instid1(VALU_DEP_4)
	v_add_co_u32 v9, vcc_lo, v10, v9
	v_add_co_ci_u32_e32 v10, vcc_lo, 0, v11, vcc_lo
	s_delay_alu instid0(VALU_DEP_4) | instskip(NEXT) | instid1(VALU_DEP_3)
	v_xor_b32_e32 v18, v12, v17
	v_add_co_u32 v3, vcc_lo, v3, v9
	s_delay_alu instid0(VALU_DEP_3) | instskip(SKIP_1) | instid1(VALU_DEP_3)
	v_add_co_ci_u32_e32 v19, vcc_lo, v8, v10, vcc_lo
	v_xor_b32_e32 v20, v13, v17
	v_mul_hi_u32 v21, v18, v3
	s_delay_alu instid0(VALU_DEP_3) | instskip(NEXT) | instid1(VALU_DEP_3)
	v_mad_u64_u32 v[8:9], null, v18, v19, 0
	v_mad_u64_u32 v[10:11], null, v20, v3, 0
	;; [unrolled: 1-line block ×3, first 2 shown]
	s_delay_alu instid0(VALU_DEP_3) | instskip(NEXT) | instid1(VALU_DEP_4)
	v_add_co_u32 v3, vcc_lo, v21, v8
	v_add_co_ci_u32_e32 v8, vcc_lo, 0, v9, vcc_lo
	s_delay_alu instid0(VALU_DEP_2) | instskip(NEXT) | instid1(VALU_DEP_2)
	v_add_co_u32 v3, vcc_lo, v3, v10
	v_add_co_ci_u32_e32 v3, vcc_lo, v8, v11, vcc_lo
	v_add_co_ci_u32_e32 v8, vcc_lo, 0, v13, vcc_lo
	s_delay_alu instid0(VALU_DEP_2) | instskip(NEXT) | instid1(VALU_DEP_2)
	v_add_co_u32 v3, vcc_lo, v3, v12
	v_add_co_ci_u32_e32 v10, vcc_lo, 0, v8, vcc_lo
	s_delay_alu instid0(VALU_DEP_2) | instskip(SKIP_1) | instid1(VALU_DEP_3)
	v_mul_lo_u32 v11, s45, v3
	v_mad_u64_u32 v[8:9], null, s44, v3, 0
	v_mul_lo_u32 v3, s44, v10
	s_delay_alu instid0(VALU_DEP_2) | instskip(NEXT) | instid1(VALU_DEP_2)
	v_sub_co_u32 v8, vcc_lo, v18, v8
	v_add3_u32 v3, v9, v3, v11
	s_delay_alu instid0(VALU_DEP_1) | instskip(NEXT) | instid1(VALU_DEP_1)
	v_sub_nc_u32_e32 v9, v20, v3
	v_subrev_co_ci_u32_e64 v9, s0, s45, v9, vcc_lo
	v_sub_co_ci_u32_e32 v3, vcc_lo, v20, v3, vcc_lo
	v_sub_co_u32 v10, vcc_lo, v8, s44
	s_delay_alu instid0(VALU_DEP_1) | instskip(SKIP_3) | instid1(VALU_DEP_3)
	v_subrev_co_ci_u32_e64 v11, s0, 0, v9, vcc_lo
	v_cmp_le_u32_e64 s0, s44, v8
	v_subrev_co_ci_u32_e32 v9, vcc_lo, s45, v9, vcc_lo
	v_cmp_le_u32_e32 vcc_lo, s45, v3
	v_cndmask_b32_e64 v12, 0, -1, s0
	v_cmp_le_u32_e64 s0, s44, v10
	v_cndmask_b32_e64 v19, 0, -1, vcc_lo
	v_cmp_eq_u32_e32 vcc_lo, s45, v11
	s_delay_alu instid0(VALU_DEP_3) | instskip(SKIP_1) | instid1(VALU_DEP_1)
	v_cndmask_b32_e64 v13, 0, -1, s0
	v_cmp_le_u32_e64 s0, s45, v11
	v_cndmask_b32_e64 v18, 0, -1, s0
	v_cmp_eq_u32_e64 s0, s45, v3
	s_delay_alu instid0(VALU_DEP_2) | instskip(SKIP_2) | instid1(VALU_DEP_3)
	v_cndmask_b32_e32 v13, v18, v13, vcc_lo
	v_sub_co_u32 v18, vcc_lo, v10, s44
	v_subrev_co_ci_u32_e32 v9, vcc_lo, 0, v9, vcc_lo
	v_cmp_ne_u32_e32 vcc_lo, 0, v13
	v_cndmask_b32_e64 v12, v19, v12, s0
	s_delay_alu instid0(VALU_DEP_3) | instskip(NEXT) | instid1(VALU_DEP_2)
	v_dual_cndmask_b32 v9, v11, v9 :: v_dual_cndmask_b32 v10, v10, v18
	v_cmp_ne_u32_e32 vcc_lo, 0, v12
	s_delay_alu instid0(VALU_DEP_2) | instskip(NEXT) | instid1(VALU_DEP_1)
	v_dual_cndmask_b32 v8, v8, v10 :: v_dual_cndmask_b32 v3, v3, v9
	v_xor_b32_e32 v8, v8, v17
	s_delay_alu instid0(VALU_DEP_2) | instskip(NEXT) | instid1(VALU_DEP_2)
	v_xor_b32_e32 v3, v3, v17
	v_sub_co_u32 v8, vcc_lo, v8, v17
	s_delay_alu instid0(VALU_DEP_2)
	v_sub_co_ci_u32_e32 v9, vcc_lo, v3, v17, vcc_lo
.LBB0_9:                                ;   in Loop: Header=BB0_3 Depth=1
	s_and_not1_saveexec_b32 s0, s46
	s_cbranch_execz .LBB0_11
; %bb.10:                               ;   in Loop: Header=BB0_3 Depth=1
	v_cvt_f32_u32_e32 v3, s8
	s_sub_i32 s44, 0, s8
	v_mov_b32_e32 v9, v2
	s_delay_alu instid0(VALU_DEP_2) | instskip(SKIP_2) | instid1(VALU_DEP_1)
	v_rcp_iflag_f32_e32 v3, v3
	s_waitcnt_depctr 0xfff
	v_mul_f32_e32 v3, 0x4f7ffffe, v3
	v_cvt_u32_f32_e32 v3, v3
	s_delay_alu instid0(VALU_DEP_1) | instskip(NEXT) | instid1(VALU_DEP_1)
	v_mul_lo_u32 v8, s44, v3
	v_mul_hi_u32 v8, v3, v8
	s_delay_alu instid0(VALU_DEP_1) | instskip(NEXT) | instid1(VALU_DEP_1)
	v_add_nc_u32_e32 v3, v3, v8
	v_mul_hi_u32 v3, v6, v3
	s_delay_alu instid0(VALU_DEP_1) | instskip(NEXT) | instid1(VALU_DEP_1)
	v_mul_lo_u32 v3, v3, s8
	v_sub_nc_u32_e32 v3, v6, v3
	s_delay_alu instid0(VALU_DEP_1) | instskip(SKIP_1) | instid1(VALU_DEP_2)
	v_subrev_nc_u32_e32 v8, s8, v3
	v_cmp_le_u32_e32 vcc_lo, s8, v3
	v_cndmask_b32_e32 v3, v3, v8, vcc_lo
	s_delay_alu instid0(VALU_DEP_1) | instskip(SKIP_1) | instid1(VALU_DEP_2)
	v_subrev_nc_u32_e32 v8, s8, v3
	v_cmp_le_u32_e32 vcc_lo, s8, v3
	v_cndmask_b32_e32 v8, v3, v8, vcc_lo
.LBB0_11:                               ;   in Loop: Header=BB0_3 Depth=1
	s_or_b32 exec_lo, exec_lo, s0
	v_or_b32_e32 v3, s1, v15
                                        ; implicit-def: $vgpr12_vgpr13
	s_mov_b32 s0, exec_lo
	s_delay_alu instid0(VALU_DEP_1)
	v_cmpx_ne_u64_e32 0, v[2:3]
	s_xor_b32 s54, exec_lo, s0
	s_cbranch_execz .LBB0_13
; %bb.12:                               ;   in Loop: Header=BB0_3 Depth=1
	s_ashr_i32 s44, s1, 31
	s_delay_alu instid0(SALU_CYCLE_1) | instskip(SKIP_2) | instid1(SALU_CYCLE_1)
	s_add_u32 s46, s33, s44
	s_mov_b32 s45, s44
	s_addc_u32 s47, s1, s44
	s_xor_b64 s[46:47], s[46:47], s[44:45]
	s_delay_alu instid0(SALU_CYCLE_1) | instskip(SKIP_3) | instid1(VALU_DEP_1)
	v_cvt_f32_u32_e32 v3, s46
	v_cvt_f32_u32_e32 v10, s47
	s_sub_u32 s0, 0, s46
	s_subb_u32 s45, 0, s47
	v_fmac_f32_e32 v3, 0x4f800000, v10
	s_delay_alu instid0(VALU_DEP_1) | instskip(SKIP_2) | instid1(VALU_DEP_1)
	v_rcp_f32_e32 v3, v3
	s_waitcnt_depctr 0xfff
	v_mul_f32_e32 v3, 0x5f7ffffc, v3
	v_mul_f32_e32 v10, 0x2f800000, v3
	s_delay_alu instid0(VALU_DEP_1) | instskip(NEXT) | instid1(VALU_DEP_1)
	v_trunc_f32_e32 v10, v10
	v_fmac_f32_e32 v3, 0xcf800000, v10
	v_cvt_u32_f32_e32 v10, v10
	s_delay_alu instid0(VALU_DEP_2) | instskip(NEXT) | instid1(VALU_DEP_2)
	v_cvt_u32_f32_e32 v3, v3
	v_mul_lo_u32 v11, s0, v10
	s_delay_alu instid0(VALU_DEP_2) | instskip(SKIP_1) | instid1(VALU_DEP_2)
	v_mul_hi_u32 v12, s0, v3
	v_mul_lo_u32 v13, s45, v3
	v_add_nc_u32_e32 v11, v12, v11
	v_mul_lo_u32 v12, s0, v3
	s_delay_alu instid0(VALU_DEP_2) | instskip(NEXT) | instid1(VALU_DEP_2)
	v_add_nc_u32_e32 v11, v11, v13
	v_mul_hi_u32 v13, v3, v12
	s_delay_alu instid0(VALU_DEP_2)
	v_mul_lo_u32 v17, v3, v11
	v_mul_hi_u32 v18, v3, v11
	v_mul_hi_u32 v19, v10, v12
	v_mul_lo_u32 v12, v10, v12
	v_mul_hi_u32 v20, v10, v11
	v_mul_lo_u32 v11, v10, v11
	v_add_co_u32 v13, vcc_lo, v13, v17
	v_add_co_ci_u32_e32 v17, vcc_lo, 0, v18, vcc_lo
	s_delay_alu instid0(VALU_DEP_2) | instskip(NEXT) | instid1(VALU_DEP_2)
	v_add_co_u32 v12, vcc_lo, v13, v12
	v_add_co_ci_u32_e32 v12, vcc_lo, v17, v19, vcc_lo
	v_add_co_ci_u32_e32 v13, vcc_lo, 0, v20, vcc_lo
	v_ashrrev_i32_e32 v19, 31, v15
	s_delay_alu instid0(VALU_DEP_3) | instskip(NEXT) | instid1(VALU_DEP_3)
	v_add_co_u32 v11, vcc_lo, v12, v11
	v_add_co_ci_u32_e32 v12, vcc_lo, 0, v13, vcc_lo
	s_delay_alu instid0(VALU_DEP_2) | instskip(NEXT) | instid1(VALU_DEP_2)
	v_add_co_u32 v3, vcc_lo, v3, v11
	v_add_co_ci_u32_e32 v10, vcc_lo, v10, v12, vcc_lo
	s_delay_alu instid0(VALU_DEP_2) | instskip(SKIP_1) | instid1(VALU_DEP_3)
	v_mul_hi_u32 v11, s0, v3
	v_mul_lo_u32 v13, s45, v3
	v_mul_lo_u32 v12, s0, v10
	s_delay_alu instid0(VALU_DEP_1) | instskip(SKIP_1) | instid1(VALU_DEP_2)
	v_add_nc_u32_e32 v11, v11, v12
	v_mul_lo_u32 v12, s0, v3
	v_add_nc_u32_e32 v11, v11, v13
	s_delay_alu instid0(VALU_DEP_2) | instskip(NEXT) | instid1(VALU_DEP_2)
	v_mul_hi_u32 v13, v3, v12
	v_mul_lo_u32 v17, v3, v11
	v_mul_hi_u32 v18, v3, v11
	v_mul_hi_u32 v20, v10, v12
	v_mul_lo_u32 v12, v10, v12
	v_mul_hi_u32 v21, v10, v11
	v_mul_lo_u32 v11, v10, v11
	v_add_co_u32 v13, vcc_lo, v13, v17
	v_add_co_ci_u32_e32 v17, vcc_lo, 0, v18, vcc_lo
	s_delay_alu instid0(VALU_DEP_2) | instskip(NEXT) | instid1(VALU_DEP_2)
	v_add_co_u32 v12, vcc_lo, v13, v12
	v_add_co_ci_u32_e32 v12, vcc_lo, v17, v20, vcc_lo
	v_add_co_ci_u32_e32 v13, vcc_lo, 0, v21, vcc_lo
	v_add_co_u32 v17, vcc_lo, v16, v19
	v_add_co_ci_u32_e32 v18, vcc_lo, v15, v19, vcc_lo
	s_delay_alu instid0(VALU_DEP_4) | instskip(NEXT) | instid1(VALU_DEP_4)
	v_add_co_u32 v11, vcc_lo, v12, v11
	v_add_co_ci_u32_e32 v12, vcc_lo, 0, v13, vcc_lo
	s_delay_alu instid0(VALU_DEP_4) | instskip(NEXT) | instid1(VALU_DEP_3)
	v_xor_b32_e32 v20, v17, v19
	v_add_co_u32 v3, vcc_lo, v3, v11
	s_delay_alu instid0(VALU_DEP_3) | instskip(SKIP_1) | instid1(VALU_DEP_3)
	v_add_co_ci_u32_e32 v21, vcc_lo, v10, v12, vcc_lo
	v_xor_b32_e32 v22, v18, v19
	v_mul_hi_u32 v23, v20, v3
	s_delay_alu instid0(VALU_DEP_3) | instskip(NEXT) | instid1(VALU_DEP_3)
	v_mad_u64_u32 v[10:11], null, v20, v21, 0
	v_mad_u64_u32 v[12:13], null, v22, v3, 0
	;; [unrolled: 1-line block ×3, first 2 shown]
	s_delay_alu instid0(VALU_DEP_3) | instskip(NEXT) | instid1(VALU_DEP_4)
	v_add_co_u32 v3, vcc_lo, v23, v10
	v_add_co_ci_u32_e32 v10, vcc_lo, 0, v11, vcc_lo
	s_delay_alu instid0(VALU_DEP_2) | instskip(NEXT) | instid1(VALU_DEP_2)
	v_add_co_u32 v3, vcc_lo, v3, v12
	v_add_co_ci_u32_e32 v3, vcc_lo, v10, v13, vcc_lo
	v_add_co_ci_u32_e32 v10, vcc_lo, 0, v18, vcc_lo
	s_delay_alu instid0(VALU_DEP_2) | instskip(NEXT) | instid1(VALU_DEP_2)
	v_add_co_u32 v3, vcc_lo, v3, v17
	v_add_co_ci_u32_e32 v12, vcc_lo, 0, v10, vcc_lo
	s_delay_alu instid0(VALU_DEP_2) | instskip(SKIP_1) | instid1(VALU_DEP_3)
	v_mul_lo_u32 v13, s47, v3
	v_mad_u64_u32 v[10:11], null, s46, v3, 0
	v_mul_lo_u32 v17, s46, v12
	s_delay_alu instid0(VALU_DEP_2) | instskip(NEXT) | instid1(VALU_DEP_2)
	v_sub_co_u32 v10, vcc_lo, v20, v10
	v_add3_u32 v11, v11, v17, v13
	s_delay_alu instid0(VALU_DEP_1) | instskip(NEXT) | instid1(VALU_DEP_1)
	v_sub_nc_u32_e32 v13, v22, v11
	v_subrev_co_ci_u32_e64 v13, s0, s47, v13, vcc_lo
	v_add_co_u32 v17, s0, v3, 2
	s_delay_alu instid0(VALU_DEP_1) | instskip(SKIP_3) | instid1(VALU_DEP_3)
	v_add_co_ci_u32_e64 v18, s0, 0, v12, s0
	v_sub_co_u32 v20, s0, v10, s46
	v_sub_co_ci_u32_e32 v11, vcc_lo, v22, v11, vcc_lo
	v_subrev_co_ci_u32_e64 v13, s0, 0, v13, s0
	v_cmp_le_u32_e32 vcc_lo, s46, v20
	s_delay_alu instid0(VALU_DEP_3) | instskip(SKIP_1) | instid1(VALU_DEP_4)
	v_cmp_eq_u32_e64 s0, s47, v11
	v_cndmask_b32_e64 v20, 0, -1, vcc_lo
	v_cmp_le_u32_e32 vcc_lo, s47, v13
	v_cndmask_b32_e64 v21, 0, -1, vcc_lo
	v_cmp_le_u32_e32 vcc_lo, s46, v10
	v_cndmask_b32_e64 v10, 0, -1, vcc_lo
	v_cmp_le_u32_e32 vcc_lo, s47, v11
	v_cndmask_b32_e64 v22, 0, -1, vcc_lo
	v_cmp_eq_u32_e32 vcc_lo, s47, v13
	s_delay_alu instid0(VALU_DEP_2) | instskip(SKIP_3) | instid1(VALU_DEP_3)
	v_cndmask_b32_e64 v10, v22, v10, s0
	v_cndmask_b32_e32 v13, v21, v20, vcc_lo
	v_add_co_u32 v20, vcc_lo, v3, 1
	v_add_co_ci_u32_e32 v21, vcc_lo, 0, v12, vcc_lo
	v_cmp_ne_u32_e32 vcc_lo, 0, v13
	s_delay_alu instid0(VALU_DEP_2) | instskip(NEXT) | instid1(VALU_DEP_4)
	v_cndmask_b32_e32 v11, v21, v18, vcc_lo
	v_cndmask_b32_e32 v13, v20, v17, vcc_lo
	v_cmp_ne_u32_e32 vcc_lo, 0, v10
	v_xor_b32_e32 v10, s44, v19
	s_delay_alu instid0(VALU_DEP_3) | instskip(SKIP_1) | instid1(VALU_DEP_2)
	v_cndmask_b32_e32 v3, v3, v13, vcc_lo
	v_cndmask_b32_e32 v11, v12, v11, vcc_lo
	v_xor_b32_e32 v3, v3, v10
	s_delay_alu instid0(VALU_DEP_2) | instskip(NEXT) | instid1(VALU_DEP_2)
	v_xor_b32_e32 v11, v11, v10
	v_sub_co_u32 v12, vcc_lo, v3, v10
	s_delay_alu instid0(VALU_DEP_2)
	v_sub_co_ci_u32_e32 v13, vcc_lo, v11, v10, vcc_lo
.LBB0_13:                               ;   in Loop: Header=BB0_3 Depth=1
	s_and_not1_saveexec_b32 s0, s54
	s_cbranch_execz .LBB0_15
; %bb.14:                               ;   in Loop: Header=BB0_3 Depth=1
	v_cvt_f32_u32_e32 v3, s33
	s_sub_i32 s44, 0, s33
	v_mov_b32_e32 v13, v2
	s_delay_alu instid0(VALU_DEP_2) | instskip(SKIP_2) | instid1(VALU_DEP_1)
	v_rcp_iflag_f32_e32 v3, v3
	s_waitcnt_depctr 0xfff
	v_mul_f32_e32 v3, 0x4f7ffffe, v3
	v_cvt_u32_f32_e32 v3, v3
	s_delay_alu instid0(VALU_DEP_1) | instskip(NEXT) | instid1(VALU_DEP_1)
	v_mul_lo_u32 v10, s44, v3
	v_mul_hi_u32 v10, v3, v10
	s_delay_alu instid0(VALU_DEP_1) | instskip(NEXT) | instid1(VALU_DEP_1)
	v_add_nc_u32_e32 v3, v3, v10
	v_mul_hi_u32 v3, v1, v3
	s_delay_alu instid0(VALU_DEP_1) | instskip(SKIP_1) | instid1(VALU_DEP_2)
	v_mul_lo_u32 v10, v3, s33
	v_add_nc_u32_e32 v11, 1, v3
	v_sub_nc_u32_e32 v10, v1, v10
	s_delay_alu instid0(VALU_DEP_1) | instskip(SKIP_1) | instid1(VALU_DEP_2)
	v_subrev_nc_u32_e32 v12, s33, v10
	v_cmp_le_u32_e32 vcc_lo, s33, v10
	v_dual_cndmask_b32 v10, v10, v12 :: v_dual_cndmask_b32 v3, v3, v11
	s_delay_alu instid0(VALU_DEP_1) | instskip(NEXT) | instid1(VALU_DEP_2)
	v_cmp_le_u32_e32 vcc_lo, s33, v10
	v_add_nc_u32_e32 v11, 1, v3
	s_delay_alu instid0(VALU_DEP_1)
	v_cndmask_b32_e32 v12, v3, v11, vcc_lo
.LBB0_15:                               ;   in Loop: Header=BB0_3 Depth=1
	s_or_b32 exec_lo, exec_lo, s0
	s_delay_alu instid0(VALU_DEP_1) | instskip(SKIP_1) | instid1(VALU_DEP_1)
	v_or_b32_e32 v3, s11, v13
                                        ; implicit-def: $vgpr10_vgpr11
	s_mov_b32 s0, exec_lo
	v_cmpx_ne_u64_e32 0, v[2:3]
	s_xor_b32 s46, exec_lo, s0
	s_cbranch_execz .LBB0_17
; %bb.16:                               ;   in Loop: Header=BB0_3 Depth=1
	s_ashr_i32 s44, s11, 31
	s_delay_alu instid0(SALU_CYCLE_1) | instskip(SKIP_2) | instid1(SALU_CYCLE_1)
	s_add_u32 s54, s10, s44
	s_mov_b32 s45, s44
	s_addc_u32 s55, s11, s44
	s_xor_b64 s[44:45], s[54:55], s[44:45]
	s_delay_alu instid0(SALU_CYCLE_1) | instskip(SKIP_3) | instid1(VALU_DEP_1)
	v_cvt_f32_u32_e32 v3, s44
	v_cvt_f32_u32_e32 v10, s45
	s_sub_u32 s0, 0, s44
	s_subb_u32 s47, 0, s45
	v_fmac_f32_e32 v3, 0x4f800000, v10
	s_delay_alu instid0(VALU_DEP_1) | instskip(SKIP_2) | instid1(VALU_DEP_1)
	v_rcp_f32_e32 v3, v3
	s_waitcnt_depctr 0xfff
	v_mul_f32_e32 v3, 0x5f7ffffc, v3
	v_mul_f32_e32 v10, 0x2f800000, v3
	s_delay_alu instid0(VALU_DEP_1) | instskip(NEXT) | instid1(VALU_DEP_1)
	v_trunc_f32_e32 v10, v10
	v_fmac_f32_e32 v3, 0xcf800000, v10
	v_cvt_u32_f32_e32 v10, v10
	s_delay_alu instid0(VALU_DEP_2) | instskip(NEXT) | instid1(VALU_DEP_2)
	v_cvt_u32_f32_e32 v3, v3
	v_mul_lo_u32 v11, s0, v10
	s_delay_alu instid0(VALU_DEP_2) | instskip(SKIP_1) | instid1(VALU_DEP_2)
	v_mul_hi_u32 v17, s0, v3
	v_mul_lo_u32 v18, s47, v3
	v_add_nc_u32_e32 v11, v17, v11
	v_mul_lo_u32 v17, s0, v3
	s_delay_alu instid0(VALU_DEP_2) | instskip(NEXT) | instid1(VALU_DEP_2)
	v_add_nc_u32_e32 v11, v11, v18
	v_mul_hi_u32 v18, v3, v17
	s_delay_alu instid0(VALU_DEP_2)
	v_mul_lo_u32 v19, v3, v11
	v_mul_hi_u32 v20, v3, v11
	v_mul_hi_u32 v21, v10, v17
	v_mul_lo_u32 v17, v10, v17
	v_mul_hi_u32 v22, v10, v11
	v_mul_lo_u32 v11, v10, v11
	v_add_co_u32 v18, vcc_lo, v18, v19
	v_add_co_ci_u32_e32 v19, vcc_lo, 0, v20, vcc_lo
	s_delay_alu instid0(VALU_DEP_2) | instskip(NEXT) | instid1(VALU_DEP_2)
	v_add_co_u32 v17, vcc_lo, v18, v17
	v_add_co_ci_u32_e32 v17, vcc_lo, v19, v21, vcc_lo
	v_add_co_ci_u32_e32 v18, vcc_lo, 0, v22, vcc_lo
	v_ashrrev_i32_e32 v21, 31, v13
	s_delay_alu instid0(VALU_DEP_3) | instskip(NEXT) | instid1(VALU_DEP_3)
	v_add_co_u32 v11, vcc_lo, v17, v11
	v_add_co_ci_u32_e32 v17, vcc_lo, 0, v18, vcc_lo
	s_delay_alu instid0(VALU_DEP_2) | instskip(NEXT) | instid1(VALU_DEP_2)
	v_add_co_u32 v3, vcc_lo, v3, v11
	v_add_co_ci_u32_e32 v10, vcc_lo, v10, v17, vcc_lo
	s_delay_alu instid0(VALU_DEP_2) | instskip(SKIP_1) | instid1(VALU_DEP_3)
	v_mul_hi_u32 v11, s0, v3
	v_mul_lo_u32 v18, s47, v3
	v_mul_lo_u32 v17, s0, v10
	s_delay_alu instid0(VALU_DEP_1) | instskip(SKIP_1) | instid1(VALU_DEP_2)
	v_add_nc_u32_e32 v11, v11, v17
	v_mul_lo_u32 v17, s0, v3
	v_add_nc_u32_e32 v11, v11, v18
	s_delay_alu instid0(VALU_DEP_2) | instskip(NEXT) | instid1(VALU_DEP_2)
	v_mul_hi_u32 v18, v3, v17
	v_mul_lo_u32 v19, v3, v11
	v_mul_hi_u32 v20, v3, v11
	v_mul_hi_u32 v22, v10, v17
	v_mul_lo_u32 v17, v10, v17
	v_mul_hi_u32 v23, v10, v11
	v_mul_lo_u32 v11, v10, v11
	v_add_co_u32 v18, vcc_lo, v18, v19
	v_add_co_ci_u32_e32 v19, vcc_lo, 0, v20, vcc_lo
	s_delay_alu instid0(VALU_DEP_2) | instskip(NEXT) | instid1(VALU_DEP_2)
	v_add_co_u32 v17, vcc_lo, v18, v17
	v_add_co_ci_u32_e32 v17, vcc_lo, v19, v22, vcc_lo
	v_add_co_ci_u32_e32 v18, vcc_lo, 0, v23, vcc_lo
	v_add_co_u32 v12, vcc_lo, v12, v21
	v_add_co_ci_u32_e32 v13, vcc_lo, v13, v21, vcc_lo
	s_delay_alu instid0(VALU_DEP_4) | instskip(NEXT) | instid1(VALU_DEP_4)
	v_add_co_u32 v11, vcc_lo, v17, v11
	v_add_co_ci_u32_e32 v17, vcc_lo, 0, v18, vcc_lo
	s_delay_alu instid0(VALU_DEP_4) | instskip(NEXT) | instid1(VALU_DEP_3)
	v_xor_b32_e32 v19, v12, v21
	v_add_co_u32 v3, vcc_lo, v3, v11
	s_delay_alu instid0(VALU_DEP_3) | instskip(SKIP_1) | instid1(VALU_DEP_3)
	v_add_co_ci_u32_e32 v20, vcc_lo, v10, v17, vcc_lo
	v_xor_b32_e32 v22, v13, v21
	v_mul_hi_u32 v23, v19, v3
	s_delay_alu instid0(VALU_DEP_3) | instskip(NEXT) | instid1(VALU_DEP_3)
	v_mad_u64_u32 v[10:11], null, v19, v20, 0
	v_mad_u64_u32 v[12:13], null, v22, v3, 0
	v_mad_u64_u32 v[17:18], null, v22, v20, 0
	s_delay_alu instid0(VALU_DEP_3) | instskip(NEXT) | instid1(VALU_DEP_4)
	v_add_co_u32 v3, vcc_lo, v23, v10
	v_add_co_ci_u32_e32 v10, vcc_lo, 0, v11, vcc_lo
	s_delay_alu instid0(VALU_DEP_2) | instskip(NEXT) | instid1(VALU_DEP_2)
	v_add_co_u32 v3, vcc_lo, v3, v12
	v_add_co_ci_u32_e32 v3, vcc_lo, v10, v13, vcc_lo
	v_add_co_ci_u32_e32 v10, vcc_lo, 0, v18, vcc_lo
	s_delay_alu instid0(VALU_DEP_2) | instskip(NEXT) | instid1(VALU_DEP_2)
	v_add_co_u32 v3, vcc_lo, v3, v17
	v_add_co_ci_u32_e32 v12, vcc_lo, 0, v10, vcc_lo
	s_delay_alu instid0(VALU_DEP_2) | instskip(SKIP_1) | instid1(VALU_DEP_3)
	v_mul_lo_u32 v13, s45, v3
	v_mad_u64_u32 v[10:11], null, s44, v3, 0
	v_mul_lo_u32 v3, s44, v12
	s_delay_alu instid0(VALU_DEP_2) | instskip(NEXT) | instid1(VALU_DEP_2)
	v_sub_co_u32 v10, vcc_lo, v19, v10
	v_add3_u32 v3, v11, v3, v13
	s_delay_alu instid0(VALU_DEP_1) | instskip(NEXT) | instid1(VALU_DEP_1)
	v_sub_nc_u32_e32 v11, v22, v3
	v_subrev_co_ci_u32_e64 v11, s0, s45, v11, vcc_lo
	v_sub_co_ci_u32_e32 v3, vcc_lo, v22, v3, vcc_lo
	v_sub_co_u32 v12, vcc_lo, v10, s44
	s_delay_alu instid0(VALU_DEP_1) | instskip(SKIP_3) | instid1(VALU_DEP_3)
	v_subrev_co_ci_u32_e64 v13, s0, 0, v11, vcc_lo
	v_cmp_le_u32_e64 s0, s44, v10
	v_subrev_co_ci_u32_e32 v11, vcc_lo, s45, v11, vcc_lo
	v_cmp_le_u32_e32 vcc_lo, s45, v3
	v_cndmask_b32_e64 v17, 0, -1, s0
	v_cmp_le_u32_e64 s0, s44, v12
	v_cndmask_b32_e64 v20, 0, -1, vcc_lo
	v_cmp_eq_u32_e32 vcc_lo, s45, v13
	s_delay_alu instid0(VALU_DEP_3) | instskip(SKIP_1) | instid1(VALU_DEP_1)
	v_cndmask_b32_e64 v18, 0, -1, s0
	v_cmp_le_u32_e64 s0, s45, v13
	v_cndmask_b32_e64 v19, 0, -1, s0
	v_cmp_eq_u32_e64 s0, s45, v3
	s_delay_alu instid0(VALU_DEP_2) | instskip(SKIP_2) | instid1(VALU_DEP_3)
	v_cndmask_b32_e32 v18, v19, v18, vcc_lo
	v_sub_co_u32 v19, vcc_lo, v12, s44
	v_subrev_co_ci_u32_e32 v11, vcc_lo, 0, v11, vcc_lo
	v_cmp_ne_u32_e32 vcc_lo, 0, v18
	v_cndmask_b32_e64 v17, v20, v17, s0
	s_delay_alu instid0(VALU_DEP_3) | instskip(SKIP_1) | instid1(VALU_DEP_3)
	v_cndmask_b32_e32 v11, v13, v11, vcc_lo
	v_cndmask_b32_e32 v12, v12, v19, vcc_lo
	v_cmp_ne_u32_e32 vcc_lo, 0, v17
	s_delay_alu instid0(VALU_DEP_2) | instskip(NEXT) | instid1(VALU_DEP_1)
	v_dual_cndmask_b32 v10, v10, v12 :: v_dual_cndmask_b32 v3, v3, v11
                                        ; implicit-def: $vgpr12_vgpr13
	v_xor_b32_e32 v10, v10, v21
	s_delay_alu instid0(VALU_DEP_2) | instskip(NEXT) | instid1(VALU_DEP_2)
	v_xor_b32_e32 v3, v3, v21
	v_sub_co_u32 v10, vcc_lo, v10, v21
	s_delay_alu instid0(VALU_DEP_2)
	v_sub_co_ci_u32_e32 v11, vcc_lo, v3, v21, vcc_lo
.LBB0_17:                               ;   in Loop: Header=BB0_3 Depth=1
	s_and_not1_saveexec_b32 s0, s46
	s_cbranch_execz .LBB0_19
; %bb.18:                               ;   in Loop: Header=BB0_3 Depth=1
	v_cvt_f32_u32_e32 v3, s10
	s_sub_i32 s44, 0, s10
	v_mov_b32_e32 v11, v2
	s_delay_alu instid0(VALU_DEP_2) | instskip(SKIP_2) | instid1(VALU_DEP_1)
	v_rcp_iflag_f32_e32 v3, v3
	s_waitcnt_depctr 0xfff
	v_mul_f32_e32 v3, 0x4f7ffffe, v3
	v_cvt_u32_f32_e32 v3, v3
	s_delay_alu instid0(VALU_DEP_1) | instskip(NEXT) | instid1(VALU_DEP_1)
	v_mul_lo_u32 v10, s44, v3
	v_mul_hi_u32 v10, v3, v10
	s_delay_alu instid0(VALU_DEP_1) | instskip(NEXT) | instid1(VALU_DEP_1)
	v_add_nc_u32_e32 v3, v3, v10
	v_mul_hi_u32 v3, v12, v3
	s_delay_alu instid0(VALU_DEP_1) | instskip(NEXT) | instid1(VALU_DEP_1)
	v_mul_lo_u32 v3, v3, s10
	v_sub_nc_u32_e32 v3, v12, v3
	s_delay_alu instid0(VALU_DEP_1) | instskip(SKIP_1) | instid1(VALU_DEP_2)
	v_subrev_nc_u32_e32 v10, s10, v3
	v_cmp_le_u32_e32 vcc_lo, s10, v3
	v_cndmask_b32_e32 v3, v3, v10, vcc_lo
	s_delay_alu instid0(VALU_DEP_1) | instskip(SKIP_1) | instid1(VALU_DEP_2)
	v_subrev_nc_u32_e32 v10, s10, v3
	v_cmp_le_u32_e32 vcc_lo, s10, v3
	v_cndmask_b32_e32 v10, v3, v10, vcc_lo
.LBB0_19:                               ;   in Loop: Header=BB0_3 Depth=1
	s_or_b32 exec_lo, exec_lo, s0
	v_mul_lo_u32 v3, v7, s4
	v_mul_lo_u32 v7, v6, s5
	v_mad_u64_u32 v[12:13], null, v6, s4, 0
	v_mul_lo_u32 v18, s23, v8
	v_mul_lo_u32 v21, s22, v9
	;; [unrolled: 1-line block ×4, first 2 shown]
	s_mov_b32 s44, -1
	s_mov_b32 s0, -1
	v_add3_u32 v6, v13, v7, v3
	v_sub_co_u32 v3, vcc_lo, v16, v12
	v_mad_u64_u32 v[12:13], null, s22, v8, 0
	s_delay_alu instid0(VALU_DEP_3) | instskip(NEXT) | instid1(VALU_DEP_3)
	v_sub_co_ci_u32_e32 v15, vcc_lo, v15, v6, vcc_lo
	v_mul_lo_u32 v19, s21, v3
	v_mad_u64_u32 v[6:7], null, s20, v3, 0
	s_delay_alu instid0(VALU_DEP_3) | instskip(SKIP_3) | instid1(VALU_DEP_1)
	v_mul_lo_u32 v20, s20, v15
	v_mad_u64_u32 v[16:17], null, s24, v10, 0
	v_add3_u32 v13, v13, v21, v18
	s_mov_b32 s45, exec_lo
                                        ; implicit-def: $sgpr47
	v_lshlrev_b64 v[12:13], 3, v[12:13]
	s_delay_alu instid0(VALU_DEP_4) | instskip(NEXT) | instid1(VALU_DEP_4)
	v_add3_u32 v7, v7, v20, v19
	v_add3_u32 v17, v17, v23, v22
	s_delay_alu instid0(VALU_DEP_2) | instskip(NEXT) | instid1(VALU_DEP_1)
	v_lshlrev_b64 v[6:7], 3, v[6:7]
	v_add_co_u32 v18, vcc_lo, s40, v6
	s_delay_alu instid0(VALU_DEP_2) | instskip(NEXT) | instid1(VALU_DEP_4)
	v_add_co_ci_u32_e32 v19, vcc_lo, s41, v7, vcc_lo
	v_lshlrev_b64 v[6:7], 3, v[16:17]
	s_delay_alu instid0(VALU_DEP_3) | instskip(NEXT) | instid1(VALU_DEP_3)
	v_add_co_u32 v12, vcc_lo, v18, v12
	v_add_co_ci_u32_e32 v13, vcc_lo, v19, v13, vcc_lo
	s_delay_alu instid0(VALU_DEP_2) | instskip(NEXT) | instid1(VALU_DEP_2)
	v_add_co_u32 v6, vcc_lo, v12, v6
	v_add_co_ci_u32_e32 v7, vcc_lo, v13, v7, vcc_lo
	global_load_b64 v[12:13], v[6:7], off
	v_mov_b32_e32 v6, 0
	v_mov_b32_e32 v7, 0
	s_waitcnt vmcnt(0)
	v_cmpx_ne_u64_e64 s[30:31], v[12:13]
	s_cbranch_execz .LBB0_26
; %bb.20:                               ;   in Loop: Header=BB0_3 Depth=1
	v_cmp_lt_i64_e32 vcc_lo, -1, v[12:13]
	v_cmp_gt_i64_e64 s0, s[6:7], v[12:13]
	v_mov_b32_e32 v6, 0
	v_mov_b32_e32 v7, 0
	s_mov_b32 s46, 0
	s_delay_alu instid0(VALU_DEP_3) | instskip(NEXT) | instid1(SALU_CYCLE_1)
	s_and_b32 s47, vcc_lo, s0
	s_and_saveexec_b32 s0, s47
	s_cbranch_execz .LBB0_25
; %bb.21:                               ;   in Loop: Header=BB0_3 Depth=1
	v_mul_lo_u32 v18, s13, v3
	v_mul_lo_u32 v19, s12, v15
	v_mad_u64_u32 v[6:7], null, s12, v3, 0
	v_mul_lo_u32 v20, s15, v12
	v_mul_lo_u32 v21, s14, v13
	v_mad_u64_u32 v[16:17], null, s14, v12, 0
	v_mul_lo_u32 v22, s17, v8
	v_mul_lo_u32 v23, s16, v9
	v_add3_u32 v7, v7, v19, v18
	v_mad_u64_u32 v[18:19], null, s16, v8, 0
	v_mul_lo_u32 v24, s19, v10
	v_add3_u32 v17, v17, v21, v20
	s_delay_alu instid0(VALU_DEP_4) | instskip(SKIP_2) | instid1(VALU_DEP_4)
	v_lshlrev_b64 v[6:7], 3, v[6:7]
	v_mul_lo_u32 v25, s18, v11
	v_mad_u64_u32 v[20:21], null, s18, v10, 0
	v_lshlrev_b64 v[16:17], 3, v[16:17]
	v_add3_u32 v19, v19, v23, v22
	v_add_co_u32 v22, vcc_lo, s34, v6
	v_add_co_ci_u32_e32 v23, vcc_lo, s35, v7, vcc_lo
	s_delay_alu instid0(VALU_DEP_3) | instskip(SKIP_1) | instid1(VALU_DEP_4)
	v_lshlrev_b64 v[6:7], 3, v[18:19]
	v_add3_u32 v21, v21, v25, v24
	v_add_co_u32 v18, vcc_lo, v22, v16
	s_delay_alu instid0(VALU_DEP_4) | instskip(NEXT) | instid1(VALU_DEP_3)
	v_add_co_ci_u32_e32 v19, vcc_lo, v23, v17, vcc_lo
	v_lshlrev_b64 v[16:17], 3, v[20:21]
	s_delay_alu instid0(VALU_DEP_3) | instskip(NEXT) | instid1(VALU_DEP_3)
	v_add_co_u32 v6, vcc_lo, v18, v6
	v_add_co_ci_u32_e32 v7, vcc_lo, v19, v7, vcc_lo
	s_delay_alu instid0(VALU_DEP_2) | instskip(NEXT) | instid1(VALU_DEP_2)
	v_add_co_u32 v6, vcc_lo, v6, v16
	v_add_co_ci_u32_e32 v7, vcc_lo, v7, v17, vcc_lo
	s_and_not1_b32 vcc_lo, exec_lo, s48
	global_load_b64 v[6:7], v[6:7], off
	s_cbranch_vccnz .LBB0_23
; %bb.22:                               ;   in Loop: Header=BB0_3 Depth=1
	v_lshlrev_b64 v[12:13], 3, v[12:13]
	s_delay_alu instid0(VALU_DEP_1) | instskip(NEXT) | instid1(VALU_DEP_2)
	v_add_co_u32 v12, vcc_lo, s28, v12
	v_add_co_ci_u32_e32 v13, vcc_lo, s29, v13, vcc_lo
	global_load_b64 v[12:13], v[12:13], off
	s_branch .LBB0_24
.LBB0_23:                               ;   in Loop: Header=BB0_3 Depth=1
	v_mov_b32_e32 v12, 0
	v_mov_b32_e32 v13, 0x3ff00000
.LBB0_24:                               ;   in Loop: Header=BB0_3 Depth=1
	s_mov_b32 s46, exec_lo
	s_waitcnt vmcnt(0)
	s_delay_alu instid0(VALU_DEP_1)
	v_mul_f64 v[6:7], v[12:13], -v[6:7]
.LBB0_25:                               ;   in Loop: Header=BB0_3 Depth=1
	s_or_b32 exec_lo, exec_lo, s0
	s_mov_b32 s47, -1
	s_or_not1_b32 s0, s46, exec_lo
.LBB0_26:                               ;   in Loop: Header=BB0_3 Depth=1
	s_or_b32 exec_lo, exec_lo, s45
	s_delay_alu instid0(SALU_CYCLE_1) | instskip(SKIP_1) | instid1(SALU_CYCLE_1)
	s_and_not1_b32 s45, s53, exec_lo
	s_and_b32 s46, s47, exec_lo
	s_or_b32 s53, s45, s46
	s_and_saveexec_b32 s45, s0
	s_cbranch_execz .LBB0_2
; %bb.27:                               ;   in Loop: Header=BB0_3 Depth=1
	v_mul_lo_u32 v17, s37, v3
	v_mul_lo_u32 v18, s36, v15
	v_mad_u64_u32 v[12:13], null, s36, v3, 0
	v_mul_lo_u32 v3, s39, v8
	v_mul_lo_u32 v9, s38, v9
	v_mad_u64_u32 v[15:16], null, s38, v8, 0
	v_add_co_u32 v0, s0, v0, 0
	v_add3_u32 v13, v13, v18, v17
	v_mul_lo_u32 v17, s43, v10
	v_mul_lo_u32 v18, s42, v11
	v_add_co_ci_u32_e64 v1, s0, s52, v1, s0
	v_add3_u32 v16, v16, v9, v3
	v_lshlrev_b64 v[8:9], 3, v[12:13]
	v_mad_u64_u32 v[11:12], null, s42, v10, 0
	s_and_not1_b32 s53, s53, exec_lo
	s_delay_alu instid0(VALU_DEP_3) | instskip(NEXT) | instid1(VALU_DEP_3)
	v_lshlrev_b64 v[15:16], 3, v[15:16]
	v_add_co_u32 v3, vcc_lo, s26, v8
	s_delay_alu instid0(VALU_DEP_4) | instskip(NEXT) | instid1(VALU_DEP_4)
	v_add_co_ci_u32_e32 v8, vcc_lo, s27, v9, vcc_lo
	v_add3_u32 v12, v12, v18, v17
	s_delay_alu instid0(VALU_DEP_3) | instskip(NEXT) | instid1(VALU_DEP_3)
	v_add_co_u32 v3, vcc_lo, v3, v15
	v_add_co_ci_u32_e32 v10, vcc_lo, v8, v16, vcc_lo
	s_delay_alu instid0(VALU_DEP_3) | instskip(SKIP_2) | instid1(VALU_DEP_3)
	v_lshlrev_b64 v[8:9], 3, v[11:12]
	v_add_co_u32 v4, vcc_lo, v4, s50
	v_add_co_ci_u32_e32 v5, vcc_lo, 0, v5, vcc_lo
	v_add_co_u32 v8, vcc_lo, v3, v8
	s_delay_alu instid0(VALU_DEP_4) | instskip(NEXT) | instid1(VALU_DEP_3)
	v_add_co_ci_u32_e32 v9, vcc_lo, v10, v9, vcc_lo
	v_cmp_le_i64_e32 vcc_lo, s[2:3], v[4:5]
	global_store_b64 v[8:9], v[6:7], off
	s_or_not1_b32 s44, vcc_lo, exec_lo
	s_branch .LBB0_2
.LBB0_28:
	s_or_b32 exec_lo, exec_lo, s49
	s_and_saveexec_b32 s0, s51
	s_delay_alu instid0(SALU_CYCLE_1)
	s_xor_b32 s0, exec_lo, s0
	s_cbranch_execnz .LBB0_30
.LBB0_29:
	s_nop 0
	s_sendmsg sendmsg(MSG_DEALLOC_VGPRS)
	s_endpgm
.LBB0_30:
	s_cbranch_execnz .LBB0_32
; %bb.31:
	; divergent unreachable
	s_nop 0
	s_sendmsg sendmsg(MSG_DEALLOC_VGPRS)
	s_endpgm
.LBB0_32:
	s_trap 2
	s_sendmsg_rtn_b32 s0, sendmsg(MSG_RTN_GET_DOORBELL)
	s_mov_b32 ttmp2, m0
	s_waitcnt lgkmcnt(0)
	s_and_b32 s0, s0, 0x3ff
	s_delay_alu instid0(SALU_CYCLE_1) | instskip(NEXT) | instid1(SALU_CYCLE_1)
	s_bitset1_b32 s0, 10
	s_mov_b32 m0, s0
	s_sendmsg sendmsg(MSG_INTERRUPT)
	s_mov_b32 m0, ttmp2
.LBB0_33:                               ; =>This Inner Loop Header: Depth=1
	s_sethalt 5
	s_branch .LBB0_33
	.section	.rodata,"a",@progbits
	.p2align	6, 0x0
	.amdhsa_kernel _ZN2at6native12_GLOBAL__N_135nll_loss2d_forward_no_reduce_kernelIdEEvlN5torch10headeronly6detail27GenericPackedTensorAccessorINS5_14TensorAccessorIN3c108ArrayRefIlEET_Lm3ENS4_16DefaultPtrTraitsElEENS_6detail16IndexBoundsCheckILm4ElEESB_Lm4ESC_lEENS6_INS7_ISA_lLm2ESC_lEENSF_ILm3ElEElLm3ESC_lEENS6_INS7_ISA_SB_Lm2ESC_lEESJ_SB_Lm3ESC_lEEPKSB_l
		.amdhsa_group_segment_fixed_size 0
		.amdhsa_private_segment_fixed_size 0
		.amdhsa_kernarg_size 464
		.amdhsa_user_sgpr_count 15
		.amdhsa_user_sgpr_dispatch_ptr 0
		.amdhsa_user_sgpr_queue_ptr 0
		.amdhsa_user_sgpr_kernarg_segment_ptr 1
		.amdhsa_user_sgpr_dispatch_id 0
		.amdhsa_user_sgpr_private_segment_size 0
		.amdhsa_wavefront_size32 1
		.amdhsa_uses_dynamic_stack 0
		.amdhsa_enable_private_segment 0
		.amdhsa_system_sgpr_workgroup_id_x 1
		.amdhsa_system_sgpr_workgroup_id_y 0
		.amdhsa_system_sgpr_workgroup_id_z 0
		.amdhsa_system_sgpr_workgroup_info 0
		.amdhsa_system_vgpr_workitem_id 0
		.amdhsa_next_free_vgpr 26
		.amdhsa_next_free_sgpr 56
		.amdhsa_reserve_vcc 1
		.amdhsa_float_round_mode_32 0
		.amdhsa_float_round_mode_16_64 0
		.amdhsa_float_denorm_mode_32 3
		.amdhsa_float_denorm_mode_16_64 3
		.amdhsa_dx10_clamp 1
		.amdhsa_ieee_mode 1
		.amdhsa_fp16_overflow 0
		.amdhsa_workgroup_processor_mode 1
		.amdhsa_memory_ordered 1
		.amdhsa_forward_progress 0
		.amdhsa_shared_vgpr_count 0
		.amdhsa_exception_fp_ieee_invalid_op 0
		.amdhsa_exception_fp_denorm_src 0
		.amdhsa_exception_fp_ieee_div_zero 0
		.amdhsa_exception_fp_ieee_overflow 0
		.amdhsa_exception_fp_ieee_underflow 0
		.amdhsa_exception_fp_ieee_inexact 0
		.amdhsa_exception_int_div_zero 0
	.end_amdhsa_kernel
	.section	.text._ZN2at6native12_GLOBAL__N_135nll_loss2d_forward_no_reduce_kernelIdEEvlN5torch10headeronly6detail27GenericPackedTensorAccessorINS5_14TensorAccessorIN3c108ArrayRefIlEET_Lm3ENS4_16DefaultPtrTraitsElEENS_6detail16IndexBoundsCheckILm4ElEESB_Lm4ESC_lEENS6_INS7_ISA_lLm2ESC_lEENSF_ILm3ElEElLm3ESC_lEENS6_INS7_ISA_SB_Lm2ESC_lEESJ_SB_Lm3ESC_lEEPKSB_l,"axG",@progbits,_ZN2at6native12_GLOBAL__N_135nll_loss2d_forward_no_reduce_kernelIdEEvlN5torch10headeronly6detail27GenericPackedTensorAccessorINS5_14TensorAccessorIN3c108ArrayRefIlEET_Lm3ENS4_16DefaultPtrTraitsElEENS_6detail16IndexBoundsCheckILm4ElEESB_Lm4ESC_lEENS6_INS7_ISA_lLm2ESC_lEENSF_ILm3ElEElLm3ESC_lEENS6_INS7_ISA_SB_Lm2ESC_lEESJ_SB_Lm3ESC_lEEPKSB_l,comdat
.Lfunc_end0:
	.size	_ZN2at6native12_GLOBAL__N_135nll_loss2d_forward_no_reduce_kernelIdEEvlN5torch10headeronly6detail27GenericPackedTensorAccessorINS5_14TensorAccessorIN3c108ArrayRefIlEET_Lm3ENS4_16DefaultPtrTraitsElEENS_6detail16IndexBoundsCheckILm4ElEESB_Lm4ESC_lEENS6_INS7_ISA_lLm2ESC_lEENSF_ILm3ElEElLm3ESC_lEENS6_INS7_ISA_SB_Lm2ESC_lEESJ_SB_Lm3ESC_lEEPKSB_l, .Lfunc_end0-_ZN2at6native12_GLOBAL__N_135nll_loss2d_forward_no_reduce_kernelIdEEvlN5torch10headeronly6detail27GenericPackedTensorAccessorINS5_14TensorAccessorIN3c108ArrayRefIlEET_Lm3ENS4_16DefaultPtrTraitsElEENS_6detail16IndexBoundsCheckILm4ElEESB_Lm4ESC_lEENS6_INS7_ISA_lLm2ESC_lEENSF_ILm3ElEElLm3ESC_lEENS6_INS7_ISA_SB_Lm2ESC_lEESJ_SB_Lm3ESC_lEEPKSB_l
                                        ; -- End function
	.section	.AMDGPU.csdata,"",@progbits
; Kernel info:
; codeLenInByte = 5224
; NumSgprs: 58
; NumVgprs: 26
; ScratchSize: 0
; MemoryBound: 0
; FloatMode: 240
; IeeeMode: 1
; LDSByteSize: 0 bytes/workgroup (compile time only)
; SGPRBlocks: 7
; VGPRBlocks: 3
; NumSGPRsForWavesPerEU: 58
; NumVGPRsForWavesPerEU: 26
; Occupancy: 16
; WaveLimiterHint : 1
; COMPUTE_PGM_RSRC2:SCRATCH_EN: 0
; COMPUTE_PGM_RSRC2:USER_SGPR: 15
; COMPUTE_PGM_RSRC2:TRAP_HANDLER: 0
; COMPUTE_PGM_RSRC2:TGID_X_EN: 1
; COMPUTE_PGM_RSRC2:TGID_Y_EN: 0
; COMPUTE_PGM_RSRC2:TGID_Z_EN: 0
; COMPUTE_PGM_RSRC2:TIDIG_COMP_CNT: 0
	.section	.text._ZN2at6native12_GLOBAL__N_135nll_loss2d_forward_no_reduce_kernelIfEEvlN5torch10headeronly6detail27GenericPackedTensorAccessorINS5_14TensorAccessorIN3c108ArrayRefIlEET_Lm3ENS4_16DefaultPtrTraitsElEENS_6detail16IndexBoundsCheckILm4ElEESB_Lm4ESC_lEENS6_INS7_ISA_lLm2ESC_lEENSF_ILm3ElEElLm3ESC_lEENS6_INS7_ISA_SB_Lm2ESC_lEESJ_SB_Lm3ESC_lEEPKSB_l,"axG",@progbits,_ZN2at6native12_GLOBAL__N_135nll_loss2d_forward_no_reduce_kernelIfEEvlN5torch10headeronly6detail27GenericPackedTensorAccessorINS5_14TensorAccessorIN3c108ArrayRefIlEET_Lm3ENS4_16DefaultPtrTraitsElEENS_6detail16IndexBoundsCheckILm4ElEESB_Lm4ESC_lEENS6_INS7_ISA_lLm2ESC_lEENSF_ILm3ElEElLm3ESC_lEENS6_INS7_ISA_SB_Lm2ESC_lEESJ_SB_Lm3ESC_lEEPKSB_l,comdat
	.globl	_ZN2at6native12_GLOBAL__N_135nll_loss2d_forward_no_reduce_kernelIfEEvlN5torch10headeronly6detail27GenericPackedTensorAccessorINS5_14TensorAccessorIN3c108ArrayRefIlEET_Lm3ENS4_16DefaultPtrTraitsElEENS_6detail16IndexBoundsCheckILm4ElEESB_Lm4ESC_lEENS6_INS7_ISA_lLm2ESC_lEENSF_ILm3ElEElLm3ESC_lEENS6_INS7_ISA_SB_Lm2ESC_lEESJ_SB_Lm3ESC_lEEPKSB_l ; -- Begin function _ZN2at6native12_GLOBAL__N_135nll_loss2d_forward_no_reduce_kernelIfEEvlN5torch10headeronly6detail27GenericPackedTensorAccessorINS5_14TensorAccessorIN3c108ArrayRefIlEET_Lm3ENS4_16DefaultPtrTraitsElEENS_6detail16IndexBoundsCheckILm4ElEESB_Lm4ESC_lEENS6_INS7_ISA_lLm2ESC_lEENSF_ILm3ElEElLm3ESC_lEENS6_INS7_ISA_SB_Lm2ESC_lEESJ_SB_Lm3ESC_lEEPKSB_l
	.p2align	8
	.type	_ZN2at6native12_GLOBAL__N_135nll_loss2d_forward_no_reduce_kernelIfEEvlN5torch10headeronly6detail27GenericPackedTensorAccessorINS5_14TensorAccessorIN3c108ArrayRefIlEET_Lm3ENS4_16DefaultPtrTraitsElEENS_6detail16IndexBoundsCheckILm4ElEESB_Lm4ESC_lEENS6_INS7_ISA_lLm2ESC_lEENSF_ILm3ElEElLm3ESC_lEENS6_INS7_ISA_SB_Lm2ESC_lEESJ_SB_Lm3ESC_lEEPKSB_l,@function
_ZN2at6native12_GLOBAL__N_135nll_loss2d_forward_no_reduce_kernelIfEEvlN5torch10headeronly6detail27GenericPackedTensorAccessorINS5_14TensorAccessorIN3c108ArrayRefIlEET_Lm3ENS4_16DefaultPtrTraitsElEENS_6detail16IndexBoundsCheckILm4ElEESB_Lm4ESC_lEENS6_INS7_ISA_lLm2ESC_lEENSF_ILm3ElEElLm3ESC_lEENS6_INS7_ISA_SB_Lm2ESC_lEESJ_SB_Lm3ESC_lEEPKSB_l: ; @_ZN2at6native12_GLOBAL__N_135nll_loss2d_forward_no_reduce_kernelIfEEvlN5torch10headeronly6detail27GenericPackedTensorAccessorINS5_14TensorAccessorIN3c108ArrayRefIlEET_Lm3ENS4_16DefaultPtrTraitsElEENS_6detail16IndexBoundsCheckILm4ElEESB_Lm4ESC_lEENS6_INS7_ISA_lLm2ESC_lEENSF_ILm3ElEElLm3ESC_lEENS6_INS7_ISA_SB_Lm2ESC_lEESJ_SB_Lm3ESC_lEEPKSB_l
; %bb.0:
	s_clause 0x1
	s_load_b32 s4, s[0:1], 0xdc
	s_load_b64 s[2:3], s[0:1], 0x0
	v_mov_b32_e32 v2, 0
	s_add_u32 s20, s0, 0xd0
	s_addc_u32 s21, s1, 0
	s_delay_alu instid0(VALU_DEP_1) | instskip(SKIP_3) | instid1(VALU_DEP_1)
	v_mov_b32_e32 v1, v2
	s_waitcnt lgkmcnt(0)
	s_and_b32 s44, s4, 0xffff
	s_mov_b32 s4, exec_lo
	v_mad_u64_u32 v[4:5], null, s44, s15, v[0:1]
	s_delay_alu instid0(VALU_DEP_1)
	v_cmpx_gt_i64_e64 s[2:3], v[4:5]
	s_cbranch_execz .LBB1_29
; %bb.1:
	s_clause 0x3
	s_load_b256 s[4:11], s[0:1], 0x10
	s_load_b128 s[28:31], s[0:1], 0xc0
	s_load_b64 s[34:35], s[0:1], 0x8
	s_load_b256 s[12:19], s[0:1], 0x30
	s_load_b32 s45, s[20:21], 0x0
	s_clause 0x3
	s_load_b64 s[40:41], s[0:1], 0x50
	s_load_b256 s[20:27], s[0:1], 0x70
	s_load_b64 s[42:43], s[0:1], 0xb8
	s_load_b128 s[36:39], s[0:1], 0xa8
	s_mov_b32 s49, 0
                                        ; implicit-def: $sgpr51
                                        ; implicit-def: $sgpr53
	s_waitcnt lgkmcnt(0)
	v_cvt_f32_u32_e32 v0, s4
	s_mul_i32 s0, s8, s5
	s_mul_hi_u32 s1, s8, s4
	s_mul_i32 s33, s9, s4
	s_add_i32 s0, s1, s0
	v_rcp_iflag_f32_e32 v0, v0
	v_mov_b32_e32 v3, v4
	s_add_i32 s1, s0, s33
	s_cmp_lg_u64 s[28:29], 0
	s_mul_i32 s50, s45, s44
	s_mul_i32 s33, s8, s4
	s_cselect_b32 s48, -1, 0
	s_mov_b32 s52, s50
	s_waitcnt_depctr 0xfff
	v_mul_f32_e32 v0, 0x4f7ffffe, v0
	s_delay_alu instid0(VALU_DEP_1)
	v_cvt_u32_f32_e32 v14, v0
	v_dual_mov_b32 v0, v2 :: v_dual_mov_b32 v1, v3
	s_branch .LBB1_3
.LBB1_2:                                ;   in Loop: Header=BB1_3 Depth=1
	s_or_b32 exec_lo, exec_lo, s45
	s_delay_alu instid0(SALU_CYCLE_1) | instskip(NEXT) | instid1(SALU_CYCLE_1)
	s_and_b32 s0, exec_lo, s44
	s_or_b32 s49, s0, s49
	s_and_not1_b32 s0, s51, exec_lo
	s_and_b32 s44, s53, exec_lo
	s_delay_alu instid0(SALU_CYCLE_1)
	s_or_b32 s51, s0, s44
	s_and_not1_b32 exec_lo, exec_lo, s49
	s_cbranch_execz .LBB1_28
.LBB1_3:                                ; =>This Inner Loop Header: Depth=1
	s_delay_alu instid0(VALU_DEP_1) | instskip(SKIP_2) | instid1(VALU_DEP_2)
	v_ashrrev_i32_e32 v15, 31, v1
	v_mov_b32_e32 v16, v1
                                        ; implicit-def: $vgpr6_vgpr7
	s_mov_b32 s0, exec_lo
	v_or_b32_e32 v3, s5, v15
	s_delay_alu instid0(VALU_DEP_1)
	v_cmpx_ne_u64_e32 0, v[2:3]
	s_xor_b32 s54, exec_lo, s0
	s_cbranch_execz .LBB1_5
; %bb.4:                                ;   in Loop: Header=BB1_3 Depth=1
	s_ashr_i32 s44, s5, 31
	s_delay_alu instid0(SALU_CYCLE_1) | instskip(SKIP_2) | instid1(SALU_CYCLE_1)
	s_add_u32 s46, s4, s44
	s_mov_b32 s45, s44
	s_addc_u32 s47, s5, s44
	s_xor_b64 s[46:47], s[46:47], s[44:45]
	s_delay_alu instid0(SALU_CYCLE_1) | instskip(SKIP_3) | instid1(VALU_DEP_1)
	v_cvt_f32_u32_e32 v3, s46
	v_cvt_f32_u32_e32 v6, s47
	s_sub_u32 s0, 0, s46
	s_subb_u32 s45, 0, s47
	v_fmac_f32_e32 v3, 0x4f800000, v6
	s_delay_alu instid0(VALU_DEP_1) | instskip(SKIP_2) | instid1(VALU_DEP_1)
	v_rcp_f32_e32 v3, v3
	s_waitcnt_depctr 0xfff
	v_mul_f32_e32 v3, 0x5f7ffffc, v3
	v_mul_f32_e32 v6, 0x2f800000, v3
	s_delay_alu instid0(VALU_DEP_1) | instskip(NEXT) | instid1(VALU_DEP_1)
	v_trunc_f32_e32 v6, v6
	v_fmac_f32_e32 v3, 0xcf800000, v6
	v_cvt_u32_f32_e32 v6, v6
	s_delay_alu instid0(VALU_DEP_2) | instskip(NEXT) | instid1(VALU_DEP_2)
	v_cvt_u32_f32_e32 v3, v3
	v_mul_lo_u32 v7, s0, v6
	s_delay_alu instid0(VALU_DEP_2) | instskip(SKIP_1) | instid1(VALU_DEP_2)
	v_mul_hi_u32 v8, s0, v3
	v_mul_lo_u32 v9, s45, v3
	v_add_nc_u32_e32 v7, v8, v7
	v_mul_lo_u32 v8, s0, v3
	s_delay_alu instid0(VALU_DEP_2) | instskip(NEXT) | instid1(VALU_DEP_2)
	v_add_nc_u32_e32 v7, v7, v9
	v_mul_hi_u32 v9, v3, v8
	s_delay_alu instid0(VALU_DEP_2)
	v_mul_lo_u32 v10, v3, v7
	v_mul_hi_u32 v11, v3, v7
	v_mul_hi_u32 v12, v6, v8
	v_mul_lo_u32 v8, v6, v8
	v_mul_hi_u32 v13, v6, v7
	v_mul_lo_u32 v7, v6, v7
	v_add_co_u32 v9, vcc_lo, v9, v10
	v_add_co_ci_u32_e32 v10, vcc_lo, 0, v11, vcc_lo
	s_delay_alu instid0(VALU_DEP_2) | instskip(NEXT) | instid1(VALU_DEP_2)
	v_add_co_u32 v8, vcc_lo, v9, v8
	v_add_co_ci_u32_e32 v8, vcc_lo, v10, v12, vcc_lo
	v_add_co_ci_u32_e32 v9, vcc_lo, 0, v13, vcc_lo
	v_ashrrev_i32_e32 v12, 31, v15
	s_delay_alu instid0(VALU_DEP_3) | instskip(NEXT) | instid1(VALU_DEP_3)
	v_add_co_u32 v7, vcc_lo, v8, v7
	v_add_co_ci_u32_e32 v8, vcc_lo, 0, v9, vcc_lo
	s_delay_alu instid0(VALU_DEP_2) | instskip(NEXT) | instid1(VALU_DEP_2)
	v_add_co_u32 v3, vcc_lo, v3, v7
	v_add_co_ci_u32_e32 v6, vcc_lo, v6, v8, vcc_lo
	s_delay_alu instid0(VALU_DEP_2) | instskip(SKIP_1) | instid1(VALU_DEP_3)
	v_mul_hi_u32 v7, s0, v3
	v_mul_lo_u32 v9, s45, v3
	v_mul_lo_u32 v8, s0, v6
	s_delay_alu instid0(VALU_DEP_1) | instskip(SKIP_1) | instid1(VALU_DEP_2)
	v_add_nc_u32_e32 v7, v7, v8
	v_mul_lo_u32 v8, s0, v3
	v_add_nc_u32_e32 v7, v7, v9
	s_delay_alu instid0(VALU_DEP_2) | instskip(NEXT) | instid1(VALU_DEP_2)
	v_mul_hi_u32 v9, v3, v8
	v_mul_lo_u32 v10, v3, v7
	v_mul_hi_u32 v11, v3, v7
	v_mul_hi_u32 v13, v6, v8
	v_mul_lo_u32 v8, v6, v8
	v_mul_hi_u32 v17, v6, v7
	v_mul_lo_u32 v7, v6, v7
	v_add_co_u32 v9, vcc_lo, v9, v10
	v_add_co_ci_u32_e32 v10, vcc_lo, 0, v11, vcc_lo
	s_delay_alu instid0(VALU_DEP_2) | instskip(NEXT) | instid1(VALU_DEP_2)
	v_add_co_u32 v8, vcc_lo, v9, v8
	v_add_co_ci_u32_e32 v8, vcc_lo, v10, v13, vcc_lo
	v_add_co_ci_u32_e32 v9, vcc_lo, 0, v17, vcc_lo
	v_add_co_u32 v10, vcc_lo, v16, v12
	v_add_co_ci_u32_e32 v11, vcc_lo, v15, v12, vcc_lo
	s_delay_alu instid0(VALU_DEP_4) | instskip(NEXT) | instid1(VALU_DEP_4)
	v_add_co_u32 v7, vcc_lo, v8, v7
	v_add_co_ci_u32_e32 v8, vcc_lo, 0, v9, vcc_lo
	s_delay_alu instid0(VALU_DEP_4) | instskip(NEXT) | instid1(VALU_DEP_3)
	v_xor_b32_e32 v13, v10, v12
	v_add_co_u32 v3, vcc_lo, v3, v7
	s_delay_alu instid0(VALU_DEP_3) | instskip(SKIP_1) | instid1(VALU_DEP_3)
	v_add_co_ci_u32_e32 v17, vcc_lo, v6, v8, vcc_lo
	v_xor_b32_e32 v18, v11, v12
	v_mul_hi_u32 v19, v13, v3
	s_delay_alu instid0(VALU_DEP_3) | instskip(NEXT) | instid1(VALU_DEP_3)
	v_mad_u64_u32 v[6:7], null, v13, v17, 0
	v_mad_u64_u32 v[8:9], null, v18, v3, 0
	;; [unrolled: 1-line block ×3, first 2 shown]
	s_delay_alu instid0(VALU_DEP_3) | instskip(NEXT) | instid1(VALU_DEP_4)
	v_add_co_u32 v3, vcc_lo, v19, v6
	v_add_co_ci_u32_e32 v6, vcc_lo, 0, v7, vcc_lo
	s_delay_alu instid0(VALU_DEP_2) | instskip(NEXT) | instid1(VALU_DEP_2)
	v_add_co_u32 v3, vcc_lo, v3, v8
	v_add_co_ci_u32_e32 v3, vcc_lo, v6, v9, vcc_lo
	v_add_co_ci_u32_e32 v6, vcc_lo, 0, v11, vcc_lo
	s_delay_alu instid0(VALU_DEP_2) | instskip(NEXT) | instid1(VALU_DEP_2)
	v_add_co_u32 v3, vcc_lo, v3, v10
	v_add_co_ci_u32_e32 v8, vcc_lo, 0, v6, vcc_lo
	s_delay_alu instid0(VALU_DEP_2) | instskip(SKIP_1) | instid1(VALU_DEP_3)
	v_mul_lo_u32 v9, s47, v3
	v_mad_u64_u32 v[6:7], null, s46, v3, 0
	v_mul_lo_u32 v10, s46, v8
	s_delay_alu instid0(VALU_DEP_2) | instskip(NEXT) | instid1(VALU_DEP_2)
	v_sub_co_u32 v6, vcc_lo, v13, v6
	v_add3_u32 v7, v7, v10, v9
	s_delay_alu instid0(VALU_DEP_1) | instskip(NEXT) | instid1(VALU_DEP_1)
	v_sub_nc_u32_e32 v9, v18, v7
	v_subrev_co_ci_u32_e64 v9, s0, s47, v9, vcc_lo
	v_add_co_u32 v10, s0, v3, 2
	s_delay_alu instid0(VALU_DEP_1) | instskip(SKIP_3) | instid1(VALU_DEP_3)
	v_add_co_ci_u32_e64 v11, s0, 0, v8, s0
	v_sub_co_u32 v13, s0, v6, s46
	v_sub_co_ci_u32_e32 v7, vcc_lo, v18, v7, vcc_lo
	v_subrev_co_ci_u32_e64 v9, s0, 0, v9, s0
	v_cmp_le_u32_e32 vcc_lo, s46, v13
	s_delay_alu instid0(VALU_DEP_3) | instskip(SKIP_1) | instid1(VALU_DEP_4)
	v_cmp_eq_u32_e64 s0, s47, v7
	v_cndmask_b32_e64 v13, 0, -1, vcc_lo
	v_cmp_le_u32_e32 vcc_lo, s47, v9
	v_cndmask_b32_e64 v17, 0, -1, vcc_lo
	v_cmp_le_u32_e32 vcc_lo, s46, v6
	;; [unrolled: 2-line block ×3, first 2 shown]
	v_cndmask_b32_e64 v18, 0, -1, vcc_lo
	v_cmp_eq_u32_e32 vcc_lo, s47, v9
	s_delay_alu instid0(VALU_DEP_2) | instskip(SKIP_3) | instid1(VALU_DEP_3)
	v_cndmask_b32_e64 v6, v18, v6, s0
	v_cndmask_b32_e32 v9, v17, v13, vcc_lo
	v_add_co_u32 v13, vcc_lo, v3, 1
	v_add_co_ci_u32_e32 v17, vcc_lo, 0, v8, vcc_lo
	v_cmp_ne_u32_e32 vcc_lo, 0, v9
	s_delay_alu instid0(VALU_DEP_2) | instskip(NEXT) | instid1(VALU_DEP_4)
	v_cndmask_b32_e32 v7, v17, v11, vcc_lo
	v_cndmask_b32_e32 v9, v13, v10, vcc_lo
	v_cmp_ne_u32_e32 vcc_lo, 0, v6
	v_xor_b32_e32 v10, s44, v12
	s_delay_alu instid0(VALU_DEP_3) | instskip(NEXT) | instid1(VALU_DEP_1)
	v_dual_cndmask_b32 v3, v3, v9 :: v_dual_cndmask_b32 v6, v8, v7
	v_xor_b32_e32 v3, v3, v10
	s_delay_alu instid0(VALU_DEP_2) | instskip(NEXT) | instid1(VALU_DEP_2)
	v_xor_b32_e32 v7, v6, v10
	v_sub_co_u32 v6, vcc_lo, v3, v10
	s_delay_alu instid0(VALU_DEP_2)
	v_sub_co_ci_u32_e32 v7, vcc_lo, v7, v10, vcc_lo
.LBB1_5:                                ;   in Loop: Header=BB1_3 Depth=1
	s_and_not1_saveexec_b32 s0, s54
	s_cbranch_execz .LBB1_7
; %bb.6:                                ;   in Loop: Header=BB1_3 Depth=1
	s_sub_i32 s44, 0, s4
	s_delay_alu instid0(SALU_CYCLE_1) | instskip(NEXT) | instid1(VALU_DEP_1)
	v_mul_lo_u32 v3, s44, v14
	v_mul_hi_u32 v3, v14, v3
	s_delay_alu instid0(VALU_DEP_1) | instskip(NEXT) | instid1(VALU_DEP_1)
	v_add_nc_u32_e32 v3, v14, v3
	v_mul_hi_u32 v3, v16, v3
	s_delay_alu instid0(VALU_DEP_1) | instskip(NEXT) | instid1(VALU_DEP_1)
	v_mul_lo_u32 v6, v3, s4
	v_sub_nc_u32_e32 v6, v16, v6
	s_delay_alu instid0(VALU_DEP_1) | instskip(SKIP_1) | instid1(VALU_DEP_2)
	v_subrev_nc_u32_e32 v8, s4, v6
	v_cmp_le_u32_e32 vcc_lo, s4, v6
	v_dual_cndmask_b32 v6, v6, v8 :: v_dual_add_nc_u32 v7, 1, v3
	s_delay_alu instid0(VALU_DEP_1) | instskip(NEXT) | instid1(VALU_DEP_2)
	v_cndmask_b32_e32 v3, v3, v7, vcc_lo
	v_cmp_le_u32_e32 vcc_lo, s4, v6
	s_delay_alu instid0(VALU_DEP_2) | instskip(NEXT) | instid1(VALU_DEP_1)
	v_add_nc_u32_e32 v7, 1, v3
	v_dual_cndmask_b32 v6, v3, v7 :: v_dual_mov_b32 v7, v2
.LBB1_7:                                ;   in Loop: Header=BB1_3 Depth=1
	s_or_b32 exec_lo, exec_lo, s0
	s_delay_alu instid0(VALU_DEP_1) | instskip(SKIP_1) | instid1(VALU_DEP_1)
	v_or_b32_e32 v3, s9, v7
                                        ; implicit-def: $vgpr8_vgpr9
	s_mov_b32 s0, exec_lo
	v_cmpx_ne_u64_e32 0, v[2:3]
	s_xor_b32 s46, exec_lo, s0
	s_cbranch_execz .LBB1_9
; %bb.8:                                ;   in Loop: Header=BB1_3 Depth=1
	s_ashr_i32 s44, s9, 31
	s_delay_alu instid0(SALU_CYCLE_1) | instskip(SKIP_2) | instid1(SALU_CYCLE_1)
	s_add_u32 s54, s8, s44
	s_mov_b32 s45, s44
	s_addc_u32 s55, s9, s44
	s_xor_b64 s[44:45], s[54:55], s[44:45]
	s_delay_alu instid0(SALU_CYCLE_1) | instskip(SKIP_3) | instid1(VALU_DEP_1)
	v_cvt_f32_u32_e32 v3, s44
	v_cvt_f32_u32_e32 v8, s45
	s_sub_u32 s0, 0, s44
	s_subb_u32 s47, 0, s45
	v_fmac_f32_e32 v3, 0x4f800000, v8
	s_delay_alu instid0(VALU_DEP_1) | instskip(SKIP_2) | instid1(VALU_DEP_1)
	v_rcp_f32_e32 v3, v3
	s_waitcnt_depctr 0xfff
	v_mul_f32_e32 v3, 0x5f7ffffc, v3
	v_mul_f32_e32 v8, 0x2f800000, v3
	s_delay_alu instid0(VALU_DEP_1) | instskip(NEXT) | instid1(VALU_DEP_1)
	v_trunc_f32_e32 v8, v8
	v_fmac_f32_e32 v3, 0xcf800000, v8
	v_cvt_u32_f32_e32 v8, v8
	s_delay_alu instid0(VALU_DEP_2) | instskip(NEXT) | instid1(VALU_DEP_2)
	v_cvt_u32_f32_e32 v3, v3
	v_mul_lo_u32 v9, s0, v8
	s_delay_alu instid0(VALU_DEP_2) | instskip(SKIP_1) | instid1(VALU_DEP_2)
	v_mul_hi_u32 v10, s0, v3
	v_mul_lo_u32 v11, s47, v3
	v_add_nc_u32_e32 v9, v10, v9
	v_mul_lo_u32 v10, s0, v3
	s_delay_alu instid0(VALU_DEP_2) | instskip(NEXT) | instid1(VALU_DEP_2)
	v_add_nc_u32_e32 v9, v9, v11
	v_mul_hi_u32 v11, v3, v10
	s_delay_alu instid0(VALU_DEP_2)
	v_mul_lo_u32 v12, v3, v9
	v_mul_hi_u32 v13, v3, v9
	v_mul_hi_u32 v17, v8, v10
	v_mul_lo_u32 v10, v8, v10
	v_mul_hi_u32 v18, v8, v9
	v_mul_lo_u32 v9, v8, v9
	v_add_co_u32 v11, vcc_lo, v11, v12
	v_add_co_ci_u32_e32 v12, vcc_lo, 0, v13, vcc_lo
	s_delay_alu instid0(VALU_DEP_2) | instskip(NEXT) | instid1(VALU_DEP_2)
	v_add_co_u32 v10, vcc_lo, v11, v10
	v_add_co_ci_u32_e32 v10, vcc_lo, v12, v17, vcc_lo
	v_add_co_ci_u32_e32 v11, vcc_lo, 0, v18, vcc_lo
	v_ashrrev_i32_e32 v17, 31, v7
	s_delay_alu instid0(VALU_DEP_3) | instskip(NEXT) | instid1(VALU_DEP_3)
	v_add_co_u32 v9, vcc_lo, v10, v9
	v_add_co_ci_u32_e32 v10, vcc_lo, 0, v11, vcc_lo
	s_delay_alu instid0(VALU_DEP_2) | instskip(NEXT) | instid1(VALU_DEP_2)
	v_add_co_u32 v3, vcc_lo, v3, v9
	v_add_co_ci_u32_e32 v8, vcc_lo, v8, v10, vcc_lo
	s_delay_alu instid0(VALU_DEP_2) | instskip(SKIP_1) | instid1(VALU_DEP_3)
	v_mul_hi_u32 v9, s0, v3
	v_mul_lo_u32 v11, s47, v3
	v_mul_lo_u32 v10, s0, v8
	s_delay_alu instid0(VALU_DEP_1) | instskip(SKIP_1) | instid1(VALU_DEP_2)
	v_add_nc_u32_e32 v9, v9, v10
	v_mul_lo_u32 v10, s0, v3
	v_add_nc_u32_e32 v9, v9, v11
	s_delay_alu instid0(VALU_DEP_2) | instskip(NEXT) | instid1(VALU_DEP_2)
	v_mul_hi_u32 v11, v3, v10
	v_mul_lo_u32 v12, v3, v9
	v_mul_hi_u32 v13, v3, v9
	v_mul_hi_u32 v18, v8, v10
	v_mul_lo_u32 v10, v8, v10
	v_mul_hi_u32 v19, v8, v9
	v_mul_lo_u32 v9, v8, v9
	v_add_co_u32 v11, vcc_lo, v11, v12
	v_add_co_ci_u32_e32 v12, vcc_lo, 0, v13, vcc_lo
	s_delay_alu instid0(VALU_DEP_2) | instskip(NEXT) | instid1(VALU_DEP_2)
	v_add_co_u32 v10, vcc_lo, v11, v10
	v_add_co_ci_u32_e32 v10, vcc_lo, v12, v18, vcc_lo
	v_add_co_ci_u32_e32 v11, vcc_lo, 0, v19, vcc_lo
	v_add_co_u32 v12, vcc_lo, v6, v17
	v_add_co_ci_u32_e32 v13, vcc_lo, v7, v17, vcc_lo
	s_delay_alu instid0(VALU_DEP_4) | instskip(NEXT) | instid1(VALU_DEP_4)
	v_add_co_u32 v9, vcc_lo, v10, v9
	v_add_co_ci_u32_e32 v10, vcc_lo, 0, v11, vcc_lo
	s_delay_alu instid0(VALU_DEP_4) | instskip(NEXT) | instid1(VALU_DEP_3)
	v_xor_b32_e32 v18, v12, v17
	v_add_co_u32 v3, vcc_lo, v3, v9
	s_delay_alu instid0(VALU_DEP_3) | instskip(SKIP_1) | instid1(VALU_DEP_3)
	v_add_co_ci_u32_e32 v19, vcc_lo, v8, v10, vcc_lo
	v_xor_b32_e32 v20, v13, v17
	v_mul_hi_u32 v21, v18, v3
	s_delay_alu instid0(VALU_DEP_3) | instskip(NEXT) | instid1(VALU_DEP_3)
	v_mad_u64_u32 v[8:9], null, v18, v19, 0
	v_mad_u64_u32 v[10:11], null, v20, v3, 0
	;; [unrolled: 1-line block ×3, first 2 shown]
	s_delay_alu instid0(VALU_DEP_3) | instskip(NEXT) | instid1(VALU_DEP_4)
	v_add_co_u32 v3, vcc_lo, v21, v8
	v_add_co_ci_u32_e32 v8, vcc_lo, 0, v9, vcc_lo
	s_delay_alu instid0(VALU_DEP_2) | instskip(NEXT) | instid1(VALU_DEP_2)
	v_add_co_u32 v3, vcc_lo, v3, v10
	v_add_co_ci_u32_e32 v3, vcc_lo, v8, v11, vcc_lo
	v_add_co_ci_u32_e32 v8, vcc_lo, 0, v13, vcc_lo
	s_delay_alu instid0(VALU_DEP_2) | instskip(NEXT) | instid1(VALU_DEP_2)
	v_add_co_u32 v3, vcc_lo, v3, v12
	v_add_co_ci_u32_e32 v10, vcc_lo, 0, v8, vcc_lo
	s_delay_alu instid0(VALU_DEP_2) | instskip(SKIP_1) | instid1(VALU_DEP_3)
	v_mul_lo_u32 v11, s45, v3
	v_mad_u64_u32 v[8:9], null, s44, v3, 0
	v_mul_lo_u32 v3, s44, v10
	s_delay_alu instid0(VALU_DEP_2) | instskip(NEXT) | instid1(VALU_DEP_2)
	v_sub_co_u32 v8, vcc_lo, v18, v8
	v_add3_u32 v3, v9, v3, v11
	s_delay_alu instid0(VALU_DEP_1) | instskip(NEXT) | instid1(VALU_DEP_1)
	v_sub_nc_u32_e32 v9, v20, v3
	v_subrev_co_ci_u32_e64 v9, s0, s45, v9, vcc_lo
	v_sub_co_ci_u32_e32 v3, vcc_lo, v20, v3, vcc_lo
	v_sub_co_u32 v10, vcc_lo, v8, s44
	s_delay_alu instid0(VALU_DEP_1) | instskip(SKIP_3) | instid1(VALU_DEP_3)
	v_subrev_co_ci_u32_e64 v11, s0, 0, v9, vcc_lo
	v_cmp_le_u32_e64 s0, s44, v8
	v_subrev_co_ci_u32_e32 v9, vcc_lo, s45, v9, vcc_lo
	v_cmp_le_u32_e32 vcc_lo, s45, v3
	v_cndmask_b32_e64 v12, 0, -1, s0
	v_cmp_le_u32_e64 s0, s44, v10
	v_cndmask_b32_e64 v19, 0, -1, vcc_lo
	v_cmp_eq_u32_e32 vcc_lo, s45, v11
	s_delay_alu instid0(VALU_DEP_3) | instskip(SKIP_1) | instid1(VALU_DEP_1)
	v_cndmask_b32_e64 v13, 0, -1, s0
	v_cmp_le_u32_e64 s0, s45, v11
	v_cndmask_b32_e64 v18, 0, -1, s0
	v_cmp_eq_u32_e64 s0, s45, v3
	s_delay_alu instid0(VALU_DEP_2) | instskip(SKIP_2) | instid1(VALU_DEP_3)
	v_cndmask_b32_e32 v13, v18, v13, vcc_lo
	v_sub_co_u32 v18, vcc_lo, v10, s44
	v_subrev_co_ci_u32_e32 v9, vcc_lo, 0, v9, vcc_lo
	v_cmp_ne_u32_e32 vcc_lo, 0, v13
	v_cndmask_b32_e64 v12, v19, v12, s0
	s_delay_alu instid0(VALU_DEP_3) | instskip(NEXT) | instid1(VALU_DEP_2)
	v_dual_cndmask_b32 v9, v11, v9 :: v_dual_cndmask_b32 v10, v10, v18
	v_cmp_ne_u32_e32 vcc_lo, 0, v12
	s_delay_alu instid0(VALU_DEP_2) | instskip(NEXT) | instid1(VALU_DEP_1)
	v_dual_cndmask_b32 v8, v8, v10 :: v_dual_cndmask_b32 v3, v3, v9
	v_xor_b32_e32 v8, v8, v17
	s_delay_alu instid0(VALU_DEP_2) | instskip(NEXT) | instid1(VALU_DEP_2)
	v_xor_b32_e32 v3, v3, v17
	v_sub_co_u32 v8, vcc_lo, v8, v17
	s_delay_alu instid0(VALU_DEP_2)
	v_sub_co_ci_u32_e32 v9, vcc_lo, v3, v17, vcc_lo
.LBB1_9:                                ;   in Loop: Header=BB1_3 Depth=1
	s_and_not1_saveexec_b32 s0, s46
	s_cbranch_execz .LBB1_11
; %bb.10:                               ;   in Loop: Header=BB1_3 Depth=1
	v_cvt_f32_u32_e32 v3, s8
	s_sub_i32 s44, 0, s8
	v_mov_b32_e32 v9, v2
	s_delay_alu instid0(VALU_DEP_2) | instskip(SKIP_2) | instid1(VALU_DEP_1)
	v_rcp_iflag_f32_e32 v3, v3
	s_waitcnt_depctr 0xfff
	v_mul_f32_e32 v3, 0x4f7ffffe, v3
	v_cvt_u32_f32_e32 v3, v3
	s_delay_alu instid0(VALU_DEP_1) | instskip(NEXT) | instid1(VALU_DEP_1)
	v_mul_lo_u32 v8, s44, v3
	v_mul_hi_u32 v8, v3, v8
	s_delay_alu instid0(VALU_DEP_1) | instskip(NEXT) | instid1(VALU_DEP_1)
	v_add_nc_u32_e32 v3, v3, v8
	v_mul_hi_u32 v3, v6, v3
	s_delay_alu instid0(VALU_DEP_1) | instskip(NEXT) | instid1(VALU_DEP_1)
	v_mul_lo_u32 v3, v3, s8
	v_sub_nc_u32_e32 v3, v6, v3
	s_delay_alu instid0(VALU_DEP_1) | instskip(SKIP_1) | instid1(VALU_DEP_2)
	v_subrev_nc_u32_e32 v8, s8, v3
	v_cmp_le_u32_e32 vcc_lo, s8, v3
	v_cndmask_b32_e32 v3, v3, v8, vcc_lo
	s_delay_alu instid0(VALU_DEP_1) | instskip(SKIP_1) | instid1(VALU_DEP_2)
	v_subrev_nc_u32_e32 v8, s8, v3
	v_cmp_le_u32_e32 vcc_lo, s8, v3
	v_cndmask_b32_e32 v8, v3, v8, vcc_lo
.LBB1_11:                               ;   in Loop: Header=BB1_3 Depth=1
	s_or_b32 exec_lo, exec_lo, s0
	v_or_b32_e32 v3, s1, v15
                                        ; implicit-def: $vgpr12_vgpr13
	s_mov_b32 s0, exec_lo
	s_delay_alu instid0(VALU_DEP_1)
	v_cmpx_ne_u64_e32 0, v[2:3]
	s_xor_b32 s54, exec_lo, s0
	s_cbranch_execz .LBB1_13
; %bb.12:                               ;   in Loop: Header=BB1_3 Depth=1
	s_ashr_i32 s44, s1, 31
	s_delay_alu instid0(SALU_CYCLE_1) | instskip(SKIP_2) | instid1(SALU_CYCLE_1)
	s_add_u32 s46, s33, s44
	s_mov_b32 s45, s44
	s_addc_u32 s47, s1, s44
	s_xor_b64 s[46:47], s[46:47], s[44:45]
	s_delay_alu instid0(SALU_CYCLE_1) | instskip(SKIP_3) | instid1(VALU_DEP_1)
	v_cvt_f32_u32_e32 v3, s46
	v_cvt_f32_u32_e32 v10, s47
	s_sub_u32 s0, 0, s46
	s_subb_u32 s45, 0, s47
	v_fmac_f32_e32 v3, 0x4f800000, v10
	s_delay_alu instid0(VALU_DEP_1) | instskip(SKIP_2) | instid1(VALU_DEP_1)
	v_rcp_f32_e32 v3, v3
	s_waitcnt_depctr 0xfff
	v_mul_f32_e32 v3, 0x5f7ffffc, v3
	v_mul_f32_e32 v10, 0x2f800000, v3
	s_delay_alu instid0(VALU_DEP_1) | instskip(NEXT) | instid1(VALU_DEP_1)
	v_trunc_f32_e32 v10, v10
	v_fmac_f32_e32 v3, 0xcf800000, v10
	v_cvt_u32_f32_e32 v10, v10
	s_delay_alu instid0(VALU_DEP_2) | instskip(NEXT) | instid1(VALU_DEP_2)
	v_cvt_u32_f32_e32 v3, v3
	v_mul_lo_u32 v11, s0, v10
	s_delay_alu instid0(VALU_DEP_2) | instskip(SKIP_1) | instid1(VALU_DEP_2)
	v_mul_hi_u32 v12, s0, v3
	v_mul_lo_u32 v13, s45, v3
	v_add_nc_u32_e32 v11, v12, v11
	v_mul_lo_u32 v12, s0, v3
	s_delay_alu instid0(VALU_DEP_2) | instskip(NEXT) | instid1(VALU_DEP_2)
	v_add_nc_u32_e32 v11, v11, v13
	v_mul_hi_u32 v13, v3, v12
	s_delay_alu instid0(VALU_DEP_2)
	v_mul_lo_u32 v17, v3, v11
	v_mul_hi_u32 v18, v3, v11
	v_mul_hi_u32 v19, v10, v12
	v_mul_lo_u32 v12, v10, v12
	v_mul_hi_u32 v20, v10, v11
	v_mul_lo_u32 v11, v10, v11
	v_add_co_u32 v13, vcc_lo, v13, v17
	v_add_co_ci_u32_e32 v17, vcc_lo, 0, v18, vcc_lo
	s_delay_alu instid0(VALU_DEP_2) | instskip(NEXT) | instid1(VALU_DEP_2)
	v_add_co_u32 v12, vcc_lo, v13, v12
	v_add_co_ci_u32_e32 v12, vcc_lo, v17, v19, vcc_lo
	v_add_co_ci_u32_e32 v13, vcc_lo, 0, v20, vcc_lo
	v_ashrrev_i32_e32 v19, 31, v15
	s_delay_alu instid0(VALU_DEP_3) | instskip(NEXT) | instid1(VALU_DEP_3)
	v_add_co_u32 v11, vcc_lo, v12, v11
	v_add_co_ci_u32_e32 v12, vcc_lo, 0, v13, vcc_lo
	s_delay_alu instid0(VALU_DEP_2) | instskip(NEXT) | instid1(VALU_DEP_2)
	v_add_co_u32 v3, vcc_lo, v3, v11
	v_add_co_ci_u32_e32 v10, vcc_lo, v10, v12, vcc_lo
	s_delay_alu instid0(VALU_DEP_2) | instskip(SKIP_1) | instid1(VALU_DEP_3)
	v_mul_hi_u32 v11, s0, v3
	v_mul_lo_u32 v13, s45, v3
	v_mul_lo_u32 v12, s0, v10
	s_delay_alu instid0(VALU_DEP_1) | instskip(SKIP_1) | instid1(VALU_DEP_2)
	v_add_nc_u32_e32 v11, v11, v12
	v_mul_lo_u32 v12, s0, v3
	v_add_nc_u32_e32 v11, v11, v13
	s_delay_alu instid0(VALU_DEP_2) | instskip(NEXT) | instid1(VALU_DEP_2)
	v_mul_hi_u32 v13, v3, v12
	v_mul_lo_u32 v17, v3, v11
	v_mul_hi_u32 v18, v3, v11
	v_mul_hi_u32 v20, v10, v12
	v_mul_lo_u32 v12, v10, v12
	v_mul_hi_u32 v21, v10, v11
	v_mul_lo_u32 v11, v10, v11
	v_add_co_u32 v13, vcc_lo, v13, v17
	v_add_co_ci_u32_e32 v17, vcc_lo, 0, v18, vcc_lo
	s_delay_alu instid0(VALU_DEP_2) | instskip(NEXT) | instid1(VALU_DEP_2)
	v_add_co_u32 v12, vcc_lo, v13, v12
	v_add_co_ci_u32_e32 v12, vcc_lo, v17, v20, vcc_lo
	v_add_co_ci_u32_e32 v13, vcc_lo, 0, v21, vcc_lo
	v_add_co_u32 v17, vcc_lo, v16, v19
	v_add_co_ci_u32_e32 v18, vcc_lo, v15, v19, vcc_lo
	s_delay_alu instid0(VALU_DEP_4) | instskip(NEXT) | instid1(VALU_DEP_4)
	v_add_co_u32 v11, vcc_lo, v12, v11
	v_add_co_ci_u32_e32 v12, vcc_lo, 0, v13, vcc_lo
	s_delay_alu instid0(VALU_DEP_4) | instskip(NEXT) | instid1(VALU_DEP_3)
	v_xor_b32_e32 v20, v17, v19
	v_add_co_u32 v3, vcc_lo, v3, v11
	s_delay_alu instid0(VALU_DEP_3) | instskip(SKIP_1) | instid1(VALU_DEP_3)
	v_add_co_ci_u32_e32 v21, vcc_lo, v10, v12, vcc_lo
	v_xor_b32_e32 v22, v18, v19
	v_mul_hi_u32 v23, v20, v3
	s_delay_alu instid0(VALU_DEP_3) | instskip(NEXT) | instid1(VALU_DEP_3)
	v_mad_u64_u32 v[10:11], null, v20, v21, 0
	v_mad_u64_u32 v[12:13], null, v22, v3, 0
	;; [unrolled: 1-line block ×3, first 2 shown]
	s_delay_alu instid0(VALU_DEP_3) | instskip(NEXT) | instid1(VALU_DEP_4)
	v_add_co_u32 v3, vcc_lo, v23, v10
	v_add_co_ci_u32_e32 v10, vcc_lo, 0, v11, vcc_lo
	s_delay_alu instid0(VALU_DEP_2) | instskip(NEXT) | instid1(VALU_DEP_2)
	v_add_co_u32 v3, vcc_lo, v3, v12
	v_add_co_ci_u32_e32 v3, vcc_lo, v10, v13, vcc_lo
	v_add_co_ci_u32_e32 v10, vcc_lo, 0, v18, vcc_lo
	s_delay_alu instid0(VALU_DEP_2) | instskip(NEXT) | instid1(VALU_DEP_2)
	v_add_co_u32 v3, vcc_lo, v3, v17
	v_add_co_ci_u32_e32 v12, vcc_lo, 0, v10, vcc_lo
	s_delay_alu instid0(VALU_DEP_2) | instskip(SKIP_1) | instid1(VALU_DEP_3)
	v_mul_lo_u32 v13, s47, v3
	v_mad_u64_u32 v[10:11], null, s46, v3, 0
	v_mul_lo_u32 v17, s46, v12
	s_delay_alu instid0(VALU_DEP_2) | instskip(NEXT) | instid1(VALU_DEP_2)
	v_sub_co_u32 v10, vcc_lo, v20, v10
	v_add3_u32 v11, v11, v17, v13
	s_delay_alu instid0(VALU_DEP_1) | instskip(NEXT) | instid1(VALU_DEP_1)
	v_sub_nc_u32_e32 v13, v22, v11
	v_subrev_co_ci_u32_e64 v13, s0, s47, v13, vcc_lo
	v_add_co_u32 v17, s0, v3, 2
	s_delay_alu instid0(VALU_DEP_1) | instskip(SKIP_3) | instid1(VALU_DEP_3)
	v_add_co_ci_u32_e64 v18, s0, 0, v12, s0
	v_sub_co_u32 v20, s0, v10, s46
	v_sub_co_ci_u32_e32 v11, vcc_lo, v22, v11, vcc_lo
	v_subrev_co_ci_u32_e64 v13, s0, 0, v13, s0
	v_cmp_le_u32_e32 vcc_lo, s46, v20
	s_delay_alu instid0(VALU_DEP_3) | instskip(SKIP_1) | instid1(VALU_DEP_4)
	v_cmp_eq_u32_e64 s0, s47, v11
	v_cndmask_b32_e64 v20, 0, -1, vcc_lo
	v_cmp_le_u32_e32 vcc_lo, s47, v13
	v_cndmask_b32_e64 v21, 0, -1, vcc_lo
	v_cmp_le_u32_e32 vcc_lo, s46, v10
	v_cndmask_b32_e64 v10, 0, -1, vcc_lo
	v_cmp_le_u32_e32 vcc_lo, s47, v11
	v_cndmask_b32_e64 v22, 0, -1, vcc_lo
	v_cmp_eq_u32_e32 vcc_lo, s47, v13
	s_delay_alu instid0(VALU_DEP_2) | instskip(SKIP_3) | instid1(VALU_DEP_3)
	v_cndmask_b32_e64 v10, v22, v10, s0
	v_cndmask_b32_e32 v13, v21, v20, vcc_lo
	v_add_co_u32 v20, vcc_lo, v3, 1
	v_add_co_ci_u32_e32 v21, vcc_lo, 0, v12, vcc_lo
	v_cmp_ne_u32_e32 vcc_lo, 0, v13
	s_delay_alu instid0(VALU_DEP_2) | instskip(NEXT) | instid1(VALU_DEP_4)
	v_cndmask_b32_e32 v11, v21, v18, vcc_lo
	v_cndmask_b32_e32 v13, v20, v17, vcc_lo
	v_cmp_ne_u32_e32 vcc_lo, 0, v10
	v_xor_b32_e32 v10, s44, v19
	s_delay_alu instid0(VALU_DEP_3) | instskip(SKIP_1) | instid1(VALU_DEP_2)
	v_cndmask_b32_e32 v3, v3, v13, vcc_lo
	v_cndmask_b32_e32 v11, v12, v11, vcc_lo
	v_xor_b32_e32 v3, v3, v10
	s_delay_alu instid0(VALU_DEP_2) | instskip(NEXT) | instid1(VALU_DEP_2)
	v_xor_b32_e32 v11, v11, v10
	v_sub_co_u32 v12, vcc_lo, v3, v10
	s_delay_alu instid0(VALU_DEP_2)
	v_sub_co_ci_u32_e32 v13, vcc_lo, v11, v10, vcc_lo
.LBB1_13:                               ;   in Loop: Header=BB1_3 Depth=1
	s_and_not1_saveexec_b32 s0, s54
	s_cbranch_execz .LBB1_15
; %bb.14:                               ;   in Loop: Header=BB1_3 Depth=1
	v_cvt_f32_u32_e32 v3, s33
	s_sub_i32 s44, 0, s33
	v_mov_b32_e32 v13, v2
	s_delay_alu instid0(VALU_DEP_2) | instskip(SKIP_2) | instid1(VALU_DEP_1)
	v_rcp_iflag_f32_e32 v3, v3
	s_waitcnt_depctr 0xfff
	v_mul_f32_e32 v3, 0x4f7ffffe, v3
	v_cvt_u32_f32_e32 v3, v3
	s_delay_alu instid0(VALU_DEP_1) | instskip(NEXT) | instid1(VALU_DEP_1)
	v_mul_lo_u32 v10, s44, v3
	v_mul_hi_u32 v10, v3, v10
	s_delay_alu instid0(VALU_DEP_1) | instskip(NEXT) | instid1(VALU_DEP_1)
	v_add_nc_u32_e32 v3, v3, v10
	v_mul_hi_u32 v3, v1, v3
	s_delay_alu instid0(VALU_DEP_1) | instskip(SKIP_1) | instid1(VALU_DEP_2)
	v_mul_lo_u32 v10, v3, s33
	v_add_nc_u32_e32 v11, 1, v3
	v_sub_nc_u32_e32 v10, v1, v10
	s_delay_alu instid0(VALU_DEP_1) | instskip(SKIP_1) | instid1(VALU_DEP_2)
	v_subrev_nc_u32_e32 v12, s33, v10
	v_cmp_le_u32_e32 vcc_lo, s33, v10
	v_dual_cndmask_b32 v10, v10, v12 :: v_dual_cndmask_b32 v3, v3, v11
	s_delay_alu instid0(VALU_DEP_1) | instskip(NEXT) | instid1(VALU_DEP_2)
	v_cmp_le_u32_e32 vcc_lo, s33, v10
	v_add_nc_u32_e32 v11, 1, v3
	s_delay_alu instid0(VALU_DEP_1)
	v_cndmask_b32_e32 v12, v3, v11, vcc_lo
.LBB1_15:                               ;   in Loop: Header=BB1_3 Depth=1
	s_or_b32 exec_lo, exec_lo, s0
	s_delay_alu instid0(VALU_DEP_1) | instskip(SKIP_1) | instid1(VALU_DEP_1)
	v_or_b32_e32 v3, s11, v13
                                        ; implicit-def: $vgpr10_vgpr11
	s_mov_b32 s0, exec_lo
	v_cmpx_ne_u64_e32 0, v[2:3]
	s_xor_b32 s46, exec_lo, s0
	s_cbranch_execz .LBB1_17
; %bb.16:                               ;   in Loop: Header=BB1_3 Depth=1
	s_ashr_i32 s44, s11, 31
	s_delay_alu instid0(SALU_CYCLE_1) | instskip(SKIP_2) | instid1(SALU_CYCLE_1)
	s_add_u32 s54, s10, s44
	s_mov_b32 s45, s44
	s_addc_u32 s55, s11, s44
	s_xor_b64 s[44:45], s[54:55], s[44:45]
	s_delay_alu instid0(SALU_CYCLE_1) | instskip(SKIP_3) | instid1(VALU_DEP_1)
	v_cvt_f32_u32_e32 v3, s44
	v_cvt_f32_u32_e32 v10, s45
	s_sub_u32 s0, 0, s44
	s_subb_u32 s47, 0, s45
	v_fmac_f32_e32 v3, 0x4f800000, v10
	s_delay_alu instid0(VALU_DEP_1) | instskip(SKIP_2) | instid1(VALU_DEP_1)
	v_rcp_f32_e32 v3, v3
	s_waitcnt_depctr 0xfff
	v_mul_f32_e32 v3, 0x5f7ffffc, v3
	v_mul_f32_e32 v10, 0x2f800000, v3
	s_delay_alu instid0(VALU_DEP_1) | instskip(NEXT) | instid1(VALU_DEP_1)
	v_trunc_f32_e32 v10, v10
	v_fmac_f32_e32 v3, 0xcf800000, v10
	v_cvt_u32_f32_e32 v10, v10
	s_delay_alu instid0(VALU_DEP_2) | instskip(NEXT) | instid1(VALU_DEP_2)
	v_cvt_u32_f32_e32 v3, v3
	v_mul_lo_u32 v11, s0, v10
	s_delay_alu instid0(VALU_DEP_2) | instskip(SKIP_1) | instid1(VALU_DEP_2)
	v_mul_hi_u32 v17, s0, v3
	v_mul_lo_u32 v18, s47, v3
	v_add_nc_u32_e32 v11, v17, v11
	v_mul_lo_u32 v17, s0, v3
	s_delay_alu instid0(VALU_DEP_2) | instskip(NEXT) | instid1(VALU_DEP_2)
	v_add_nc_u32_e32 v11, v11, v18
	v_mul_hi_u32 v18, v3, v17
	s_delay_alu instid0(VALU_DEP_2)
	v_mul_lo_u32 v19, v3, v11
	v_mul_hi_u32 v20, v3, v11
	v_mul_hi_u32 v21, v10, v17
	v_mul_lo_u32 v17, v10, v17
	v_mul_hi_u32 v22, v10, v11
	v_mul_lo_u32 v11, v10, v11
	v_add_co_u32 v18, vcc_lo, v18, v19
	v_add_co_ci_u32_e32 v19, vcc_lo, 0, v20, vcc_lo
	s_delay_alu instid0(VALU_DEP_2) | instskip(NEXT) | instid1(VALU_DEP_2)
	v_add_co_u32 v17, vcc_lo, v18, v17
	v_add_co_ci_u32_e32 v17, vcc_lo, v19, v21, vcc_lo
	v_add_co_ci_u32_e32 v18, vcc_lo, 0, v22, vcc_lo
	v_ashrrev_i32_e32 v21, 31, v13
	s_delay_alu instid0(VALU_DEP_3) | instskip(NEXT) | instid1(VALU_DEP_3)
	v_add_co_u32 v11, vcc_lo, v17, v11
	v_add_co_ci_u32_e32 v17, vcc_lo, 0, v18, vcc_lo
	s_delay_alu instid0(VALU_DEP_2) | instskip(NEXT) | instid1(VALU_DEP_2)
	v_add_co_u32 v3, vcc_lo, v3, v11
	v_add_co_ci_u32_e32 v10, vcc_lo, v10, v17, vcc_lo
	s_delay_alu instid0(VALU_DEP_2) | instskip(SKIP_1) | instid1(VALU_DEP_3)
	v_mul_hi_u32 v11, s0, v3
	v_mul_lo_u32 v18, s47, v3
	v_mul_lo_u32 v17, s0, v10
	s_delay_alu instid0(VALU_DEP_1) | instskip(SKIP_1) | instid1(VALU_DEP_2)
	v_add_nc_u32_e32 v11, v11, v17
	v_mul_lo_u32 v17, s0, v3
	v_add_nc_u32_e32 v11, v11, v18
	s_delay_alu instid0(VALU_DEP_2) | instskip(NEXT) | instid1(VALU_DEP_2)
	v_mul_hi_u32 v18, v3, v17
	v_mul_lo_u32 v19, v3, v11
	v_mul_hi_u32 v20, v3, v11
	v_mul_hi_u32 v22, v10, v17
	v_mul_lo_u32 v17, v10, v17
	v_mul_hi_u32 v23, v10, v11
	v_mul_lo_u32 v11, v10, v11
	v_add_co_u32 v18, vcc_lo, v18, v19
	v_add_co_ci_u32_e32 v19, vcc_lo, 0, v20, vcc_lo
	s_delay_alu instid0(VALU_DEP_2) | instskip(NEXT) | instid1(VALU_DEP_2)
	v_add_co_u32 v17, vcc_lo, v18, v17
	v_add_co_ci_u32_e32 v17, vcc_lo, v19, v22, vcc_lo
	v_add_co_ci_u32_e32 v18, vcc_lo, 0, v23, vcc_lo
	v_add_co_u32 v12, vcc_lo, v12, v21
	v_add_co_ci_u32_e32 v13, vcc_lo, v13, v21, vcc_lo
	s_delay_alu instid0(VALU_DEP_4) | instskip(NEXT) | instid1(VALU_DEP_4)
	v_add_co_u32 v11, vcc_lo, v17, v11
	v_add_co_ci_u32_e32 v17, vcc_lo, 0, v18, vcc_lo
	s_delay_alu instid0(VALU_DEP_4) | instskip(NEXT) | instid1(VALU_DEP_3)
	v_xor_b32_e32 v19, v12, v21
	v_add_co_u32 v3, vcc_lo, v3, v11
	s_delay_alu instid0(VALU_DEP_3) | instskip(SKIP_1) | instid1(VALU_DEP_3)
	v_add_co_ci_u32_e32 v20, vcc_lo, v10, v17, vcc_lo
	v_xor_b32_e32 v22, v13, v21
	v_mul_hi_u32 v23, v19, v3
	s_delay_alu instid0(VALU_DEP_3) | instskip(NEXT) | instid1(VALU_DEP_3)
	v_mad_u64_u32 v[10:11], null, v19, v20, 0
	v_mad_u64_u32 v[12:13], null, v22, v3, 0
	;; [unrolled: 1-line block ×3, first 2 shown]
	s_delay_alu instid0(VALU_DEP_3) | instskip(NEXT) | instid1(VALU_DEP_4)
	v_add_co_u32 v3, vcc_lo, v23, v10
	v_add_co_ci_u32_e32 v10, vcc_lo, 0, v11, vcc_lo
	s_delay_alu instid0(VALU_DEP_2) | instskip(NEXT) | instid1(VALU_DEP_2)
	v_add_co_u32 v3, vcc_lo, v3, v12
	v_add_co_ci_u32_e32 v3, vcc_lo, v10, v13, vcc_lo
	v_add_co_ci_u32_e32 v10, vcc_lo, 0, v18, vcc_lo
	s_delay_alu instid0(VALU_DEP_2) | instskip(NEXT) | instid1(VALU_DEP_2)
	v_add_co_u32 v3, vcc_lo, v3, v17
	v_add_co_ci_u32_e32 v12, vcc_lo, 0, v10, vcc_lo
	s_delay_alu instid0(VALU_DEP_2) | instskip(SKIP_1) | instid1(VALU_DEP_3)
	v_mul_lo_u32 v13, s45, v3
	v_mad_u64_u32 v[10:11], null, s44, v3, 0
	v_mul_lo_u32 v3, s44, v12
	s_delay_alu instid0(VALU_DEP_2) | instskip(NEXT) | instid1(VALU_DEP_2)
	v_sub_co_u32 v10, vcc_lo, v19, v10
	v_add3_u32 v3, v11, v3, v13
	s_delay_alu instid0(VALU_DEP_1) | instskip(NEXT) | instid1(VALU_DEP_1)
	v_sub_nc_u32_e32 v11, v22, v3
	v_subrev_co_ci_u32_e64 v11, s0, s45, v11, vcc_lo
	v_sub_co_ci_u32_e32 v3, vcc_lo, v22, v3, vcc_lo
	v_sub_co_u32 v12, vcc_lo, v10, s44
	s_delay_alu instid0(VALU_DEP_1) | instskip(SKIP_3) | instid1(VALU_DEP_3)
	v_subrev_co_ci_u32_e64 v13, s0, 0, v11, vcc_lo
	v_cmp_le_u32_e64 s0, s44, v10
	v_subrev_co_ci_u32_e32 v11, vcc_lo, s45, v11, vcc_lo
	v_cmp_le_u32_e32 vcc_lo, s45, v3
	v_cndmask_b32_e64 v17, 0, -1, s0
	v_cmp_le_u32_e64 s0, s44, v12
	v_cndmask_b32_e64 v20, 0, -1, vcc_lo
	v_cmp_eq_u32_e32 vcc_lo, s45, v13
	s_delay_alu instid0(VALU_DEP_3) | instskip(SKIP_1) | instid1(VALU_DEP_1)
	v_cndmask_b32_e64 v18, 0, -1, s0
	v_cmp_le_u32_e64 s0, s45, v13
	v_cndmask_b32_e64 v19, 0, -1, s0
	v_cmp_eq_u32_e64 s0, s45, v3
	s_delay_alu instid0(VALU_DEP_2) | instskip(SKIP_2) | instid1(VALU_DEP_3)
	v_cndmask_b32_e32 v18, v19, v18, vcc_lo
	v_sub_co_u32 v19, vcc_lo, v12, s44
	v_subrev_co_ci_u32_e32 v11, vcc_lo, 0, v11, vcc_lo
	v_cmp_ne_u32_e32 vcc_lo, 0, v18
	v_cndmask_b32_e64 v17, v20, v17, s0
	s_delay_alu instid0(VALU_DEP_3) | instskip(SKIP_1) | instid1(VALU_DEP_3)
	v_cndmask_b32_e32 v11, v13, v11, vcc_lo
	v_cndmask_b32_e32 v12, v12, v19, vcc_lo
	v_cmp_ne_u32_e32 vcc_lo, 0, v17
	s_delay_alu instid0(VALU_DEP_2) | instskip(NEXT) | instid1(VALU_DEP_1)
	v_dual_cndmask_b32 v10, v10, v12 :: v_dual_cndmask_b32 v3, v3, v11
                                        ; implicit-def: $vgpr12_vgpr13
	v_xor_b32_e32 v10, v10, v21
	s_delay_alu instid0(VALU_DEP_2) | instskip(NEXT) | instid1(VALU_DEP_2)
	v_xor_b32_e32 v3, v3, v21
	v_sub_co_u32 v10, vcc_lo, v10, v21
	s_delay_alu instid0(VALU_DEP_2)
	v_sub_co_ci_u32_e32 v11, vcc_lo, v3, v21, vcc_lo
.LBB1_17:                               ;   in Loop: Header=BB1_3 Depth=1
	s_and_not1_saveexec_b32 s0, s46
	s_cbranch_execz .LBB1_19
; %bb.18:                               ;   in Loop: Header=BB1_3 Depth=1
	v_cvt_f32_u32_e32 v3, s10
	s_sub_i32 s44, 0, s10
	v_mov_b32_e32 v11, v2
	s_delay_alu instid0(VALU_DEP_2) | instskip(SKIP_2) | instid1(VALU_DEP_1)
	v_rcp_iflag_f32_e32 v3, v3
	s_waitcnt_depctr 0xfff
	v_mul_f32_e32 v3, 0x4f7ffffe, v3
	v_cvt_u32_f32_e32 v3, v3
	s_delay_alu instid0(VALU_DEP_1) | instskip(NEXT) | instid1(VALU_DEP_1)
	v_mul_lo_u32 v10, s44, v3
	v_mul_hi_u32 v10, v3, v10
	s_delay_alu instid0(VALU_DEP_1) | instskip(NEXT) | instid1(VALU_DEP_1)
	v_add_nc_u32_e32 v3, v3, v10
	v_mul_hi_u32 v3, v12, v3
	s_delay_alu instid0(VALU_DEP_1) | instskip(NEXT) | instid1(VALU_DEP_1)
	v_mul_lo_u32 v3, v3, s10
	v_sub_nc_u32_e32 v3, v12, v3
	s_delay_alu instid0(VALU_DEP_1) | instskip(SKIP_1) | instid1(VALU_DEP_2)
	v_subrev_nc_u32_e32 v10, s10, v3
	v_cmp_le_u32_e32 vcc_lo, s10, v3
	v_cndmask_b32_e32 v3, v3, v10, vcc_lo
	s_delay_alu instid0(VALU_DEP_1) | instskip(SKIP_1) | instid1(VALU_DEP_2)
	v_subrev_nc_u32_e32 v10, s10, v3
	v_cmp_le_u32_e32 vcc_lo, s10, v3
	v_cndmask_b32_e32 v10, v3, v10, vcc_lo
.LBB1_19:                               ;   in Loop: Header=BB1_3 Depth=1
	s_or_b32 exec_lo, exec_lo, s0
	v_mul_lo_u32 v3, v7, s4
	v_mul_lo_u32 v7, v6, s5
	v_mad_u64_u32 v[12:13], null, v6, s4, 0
	v_mul_lo_u32 v19, s23, v8
	v_mul_lo_u32 v20, s22, v9
	;; [unrolled: 1-line block ×4, first 2 shown]
	s_mov_b32 s44, -1
	s_mov_b32 s0, -1
	v_add3_u32 v6, v13, v7, v3
	v_sub_co_u32 v3, vcc_lo, v16, v12
	s_mov_b32 s45, exec_lo
                                        ; implicit-def: $sgpr47
	s_delay_alu instid0(VALU_DEP_2) | instskip(NEXT) | instid1(VALU_DEP_2)
	v_sub_co_ci_u32_e32 v12, vcc_lo, v15, v6, vcc_lo
	v_mul_lo_u32 v13, s21, v3
	v_mad_u64_u32 v[6:7], null, s20, v3, 0
	s_delay_alu instid0(VALU_DEP_3) | instskip(SKIP_1) | instid1(VALU_DEP_2)
	v_mul_lo_u32 v17, s20, v12
	v_mad_u64_u32 v[15:16], null, s22, v8, 0
	v_add3_u32 v7, v7, v17, v13
	v_mad_u64_u32 v[17:18], null, s24, v10, 0
	s_delay_alu instid0(VALU_DEP_3) | instskip(NEXT) | instid1(VALU_DEP_3)
	v_add3_u32 v16, v16, v20, v19
	v_lshlrev_b64 v[6:7], 3, v[6:7]
	s_delay_alu instid0(VALU_DEP_2) | instskip(NEXT) | instid1(VALU_DEP_4)
	v_lshlrev_b64 v[15:16], 3, v[15:16]
	v_add3_u32 v18, v18, v22, v21
	s_delay_alu instid0(VALU_DEP_3) | instskip(NEXT) | instid1(VALU_DEP_4)
	v_add_co_u32 v13, vcc_lo, s40, v6
	v_add_co_ci_u32_e32 v19, vcc_lo, s41, v7, vcc_lo
	s_delay_alu instid0(VALU_DEP_3) | instskip(NEXT) | instid1(VALU_DEP_3)
	v_lshlrev_b64 v[6:7], 3, v[17:18]
	v_add_co_u32 v13, vcc_lo, v13, v15
	s_delay_alu instid0(VALU_DEP_3) | instskip(NEXT) | instid1(VALU_DEP_2)
	v_add_co_ci_u32_e32 v15, vcc_lo, v19, v16, vcc_lo
	v_add_co_u32 v6, vcc_lo, v13, v6
	s_delay_alu instid0(VALU_DEP_2)
	v_add_co_ci_u32_e32 v7, vcc_lo, v15, v7, vcc_lo
	v_mov_b32_e32 v13, 0
	global_load_b64 v[6:7], v[6:7], off
	s_waitcnt vmcnt(0)
	v_cmpx_ne_u64_e64 s[30:31], v[6:7]
	s_cbranch_execz .LBB1_26
; %bb.20:                               ;   in Loop: Header=BB1_3 Depth=1
	v_cmp_lt_i64_e32 vcc_lo, -1, v[6:7]
	v_cmp_gt_i64_e64 s0, s[6:7], v[6:7]
	v_mov_b32_e32 v13, 0
	s_mov_b32 s46, 0
	s_delay_alu instid0(VALU_DEP_2) | instskip(NEXT) | instid1(SALU_CYCLE_1)
	s_and_b32 s47, vcc_lo, s0
	s_and_saveexec_b32 s0, s47
	s_cbranch_execz .LBB1_25
; %bb.21:                               ;   in Loop: Header=BB1_3 Depth=1
	v_mul_lo_u32 v13, s13, v3
	v_mul_lo_u32 v19, s12, v12
	v_mad_u64_u32 v[15:16], null, s12, v3, 0
	v_mul_lo_u32 v21, s15, v6
	v_mul_lo_u32 v22, s14, v7
	v_mad_u64_u32 v[17:18], null, s14, v6, 0
	v_mul_lo_u32 v23, s16, v9
	v_mul_lo_u32 v24, s19, v10
	v_add3_u32 v16, v16, v19, v13
	v_mul_lo_u32 v13, s17, v8
	v_mad_u64_u32 v[19:20], null, s16, v8, 0
	v_add3_u32 v18, v18, v22, v21
	s_delay_alu instid0(VALU_DEP_4) | instskip(SKIP_2) | instid1(VALU_DEP_4)
	v_lshlrev_b64 v[15:16], 2, v[15:16]
	v_mul_lo_u32 v25, s18, v11
	v_mad_u64_u32 v[21:22], null, s18, v10, 0
	v_lshlrev_b64 v[17:18], 2, v[17:18]
	v_add3_u32 v20, v20, v23, v13
	v_add_co_u32 v13, vcc_lo, s34, v15
	v_add_co_ci_u32_e32 v23, vcc_lo, s35, v16, vcc_lo
	s_delay_alu instid0(VALU_DEP_3) | instskip(SKIP_1) | instid1(VALU_DEP_4)
	v_lshlrev_b64 v[15:16], 2, v[19:20]
	v_add3_u32 v22, v22, v25, v24
	v_add_co_u32 v13, vcc_lo, v13, v17
	s_delay_alu instid0(VALU_DEP_4) | instskip(NEXT) | instid1(VALU_DEP_3)
	v_add_co_ci_u32_e32 v19, vcc_lo, v23, v18, vcc_lo
	v_lshlrev_b64 v[17:18], 2, v[21:22]
	s_delay_alu instid0(VALU_DEP_3) | instskip(NEXT) | instid1(VALU_DEP_3)
	v_add_co_u32 v13, vcc_lo, v13, v15
	v_add_co_ci_u32_e32 v16, vcc_lo, v19, v16, vcc_lo
	s_delay_alu instid0(VALU_DEP_2) | instskip(NEXT) | instid1(VALU_DEP_2)
	v_add_co_u32 v15, vcc_lo, v13, v17
	v_add_co_ci_u32_e32 v16, vcc_lo, v16, v18, vcc_lo
	s_and_not1_b32 vcc_lo, exec_lo, s48
	global_load_b32 v13, v[15:16], off
	s_cbranch_vccnz .LBB1_23
; %bb.22:                               ;   in Loop: Header=BB1_3 Depth=1
	v_lshlrev_b64 v[6:7], 2, v[6:7]
	s_delay_alu instid0(VALU_DEP_1) | instskip(NEXT) | instid1(VALU_DEP_2)
	v_add_co_u32 v6, vcc_lo, s28, v6
	v_add_co_ci_u32_e32 v7, vcc_lo, s29, v7, vcc_lo
	global_load_b32 v6, v[6:7], off
	s_branch .LBB1_24
.LBB1_23:                               ;   in Loop: Header=BB1_3 Depth=1
	v_mov_b32_e32 v6, 1.0
.LBB1_24:                               ;   in Loop: Header=BB1_3 Depth=1
	s_mov_b32 s46, exec_lo
	s_waitcnt vmcnt(0)
	s_delay_alu instid0(VALU_DEP_1)
	v_mul_f32_e64 v13, v6, -v13
.LBB1_25:                               ;   in Loop: Header=BB1_3 Depth=1
	s_or_b32 exec_lo, exec_lo, s0
	s_mov_b32 s47, -1
	s_or_not1_b32 s0, s46, exec_lo
.LBB1_26:                               ;   in Loop: Header=BB1_3 Depth=1
	s_or_b32 exec_lo, exec_lo, s45
	s_delay_alu instid0(SALU_CYCLE_1) | instskip(SKIP_1) | instid1(SALU_CYCLE_1)
	s_and_not1_b32 s45, s53, exec_lo
	s_and_b32 s46, s47, exec_lo
	s_or_b32 s53, s45, s46
	s_and_saveexec_b32 s45, s0
	s_cbranch_execz .LBB1_2
; %bb.27:                               ;   in Loop: Header=BB1_3 Depth=1
	v_mul_lo_u32 v17, s37, v3
	v_mul_lo_u32 v12, s36, v12
	v_mad_u64_u32 v[6:7], null, s36, v3, 0
	v_mul_lo_u32 v3, s39, v8
	v_mul_lo_u32 v9, s38, v9
	v_mad_u64_u32 v[15:16], null, s38, v8, 0
	v_add_co_u32 v0, s0, v0, 0
	v_add3_u32 v7, v7, v12, v17
	v_mul_lo_u32 v12, s43, v10
	v_mul_lo_u32 v17, s42, v11
	v_add_co_ci_u32_e64 v1, s0, s52, v1, s0
	v_add3_u32 v16, v16, v9, v3
	v_lshlrev_b64 v[6:7], 2, v[6:7]
	v_mad_u64_u32 v[8:9], null, s42, v10, 0
	s_and_not1_b32 s53, s53, exec_lo
	s_delay_alu instid0(VALU_DEP_3) | instskip(NEXT) | instid1(VALU_DEP_3)
	v_lshlrev_b64 v[10:11], 2, v[15:16]
	v_add_co_u32 v3, vcc_lo, s26, v6
	s_delay_alu instid0(VALU_DEP_4) | instskip(NEXT) | instid1(VALU_DEP_4)
	v_add_co_ci_u32_e32 v6, vcc_lo, s27, v7, vcc_lo
	v_add3_u32 v9, v9, v17, v12
	s_delay_alu instid0(VALU_DEP_3) | instskip(NEXT) | instid1(VALU_DEP_3)
	v_add_co_u32 v3, vcc_lo, v3, v10
	v_add_co_ci_u32_e32 v10, vcc_lo, v6, v11, vcc_lo
	s_delay_alu instid0(VALU_DEP_3) | instskip(SKIP_2) | instid1(VALU_DEP_3)
	v_lshlrev_b64 v[6:7], 2, v[8:9]
	v_add_co_u32 v4, vcc_lo, v4, s50
	v_add_co_ci_u32_e32 v5, vcc_lo, 0, v5, vcc_lo
	v_add_co_u32 v6, vcc_lo, v3, v6
	s_delay_alu instid0(VALU_DEP_4) | instskip(NEXT) | instid1(VALU_DEP_3)
	v_add_co_ci_u32_e32 v7, vcc_lo, v10, v7, vcc_lo
	v_cmp_le_i64_e32 vcc_lo, s[2:3], v[4:5]
	global_store_b32 v[6:7], v13, off
	s_or_not1_b32 s44, vcc_lo, exec_lo
	s_branch .LBB1_2
.LBB1_28:
	s_or_b32 exec_lo, exec_lo, s49
	s_and_saveexec_b32 s0, s51
	s_delay_alu instid0(SALU_CYCLE_1)
	s_xor_b32 s0, exec_lo, s0
	s_cbranch_execnz .LBB1_30
.LBB1_29:
	s_nop 0
	s_sendmsg sendmsg(MSG_DEALLOC_VGPRS)
	s_endpgm
.LBB1_30:
	s_cbranch_execnz .LBB1_32
; %bb.31:
	; divergent unreachable
	s_nop 0
	s_sendmsg sendmsg(MSG_DEALLOC_VGPRS)
	s_endpgm
.LBB1_32:
	s_trap 2
	s_sendmsg_rtn_b32 s0, sendmsg(MSG_RTN_GET_DOORBELL)
	s_mov_b32 ttmp2, m0
	s_waitcnt lgkmcnt(0)
	s_and_b32 s0, s0, 0x3ff
	s_delay_alu instid0(SALU_CYCLE_1) | instskip(NEXT) | instid1(SALU_CYCLE_1)
	s_bitset1_b32 s0, 10
	s_mov_b32 m0, s0
	s_sendmsg sendmsg(MSG_INTERRUPT)
	s_mov_b32 m0, ttmp2
.LBB1_33:                               ; =>This Inner Loop Header: Depth=1
	s_sethalt 5
	s_branch .LBB1_33
	.section	.rodata,"a",@progbits
	.p2align	6, 0x0
	.amdhsa_kernel _ZN2at6native12_GLOBAL__N_135nll_loss2d_forward_no_reduce_kernelIfEEvlN5torch10headeronly6detail27GenericPackedTensorAccessorINS5_14TensorAccessorIN3c108ArrayRefIlEET_Lm3ENS4_16DefaultPtrTraitsElEENS_6detail16IndexBoundsCheckILm4ElEESB_Lm4ESC_lEENS6_INS7_ISA_lLm2ESC_lEENSF_ILm3ElEElLm3ESC_lEENS6_INS7_ISA_SB_Lm2ESC_lEESJ_SB_Lm3ESC_lEEPKSB_l
		.amdhsa_group_segment_fixed_size 0
		.amdhsa_private_segment_fixed_size 0
		.amdhsa_kernarg_size 464
		.amdhsa_user_sgpr_count 15
		.amdhsa_user_sgpr_dispatch_ptr 0
		.amdhsa_user_sgpr_queue_ptr 0
		.amdhsa_user_sgpr_kernarg_segment_ptr 1
		.amdhsa_user_sgpr_dispatch_id 0
		.amdhsa_user_sgpr_private_segment_size 0
		.amdhsa_wavefront_size32 1
		.amdhsa_uses_dynamic_stack 0
		.amdhsa_enable_private_segment 0
		.amdhsa_system_sgpr_workgroup_id_x 1
		.amdhsa_system_sgpr_workgroup_id_y 0
		.amdhsa_system_sgpr_workgroup_id_z 0
		.amdhsa_system_sgpr_workgroup_info 0
		.amdhsa_system_vgpr_workitem_id 0
		.amdhsa_next_free_vgpr 26
		.amdhsa_next_free_sgpr 56
		.amdhsa_reserve_vcc 1
		.amdhsa_float_round_mode_32 0
		.amdhsa_float_round_mode_16_64 0
		.amdhsa_float_denorm_mode_32 3
		.amdhsa_float_denorm_mode_16_64 3
		.amdhsa_dx10_clamp 1
		.amdhsa_ieee_mode 1
		.amdhsa_fp16_overflow 0
		.amdhsa_workgroup_processor_mode 1
		.amdhsa_memory_ordered 1
		.amdhsa_forward_progress 0
		.amdhsa_shared_vgpr_count 0
		.amdhsa_exception_fp_ieee_invalid_op 0
		.amdhsa_exception_fp_denorm_src 0
		.amdhsa_exception_fp_ieee_div_zero 0
		.amdhsa_exception_fp_ieee_overflow 0
		.amdhsa_exception_fp_ieee_underflow 0
		.amdhsa_exception_fp_ieee_inexact 0
		.amdhsa_exception_int_div_zero 0
	.end_amdhsa_kernel
	.section	.text._ZN2at6native12_GLOBAL__N_135nll_loss2d_forward_no_reduce_kernelIfEEvlN5torch10headeronly6detail27GenericPackedTensorAccessorINS5_14TensorAccessorIN3c108ArrayRefIlEET_Lm3ENS4_16DefaultPtrTraitsElEENS_6detail16IndexBoundsCheckILm4ElEESB_Lm4ESC_lEENS6_INS7_ISA_lLm2ESC_lEENSF_ILm3ElEElLm3ESC_lEENS6_INS7_ISA_SB_Lm2ESC_lEESJ_SB_Lm3ESC_lEEPKSB_l,"axG",@progbits,_ZN2at6native12_GLOBAL__N_135nll_loss2d_forward_no_reduce_kernelIfEEvlN5torch10headeronly6detail27GenericPackedTensorAccessorINS5_14TensorAccessorIN3c108ArrayRefIlEET_Lm3ENS4_16DefaultPtrTraitsElEENS_6detail16IndexBoundsCheckILm4ElEESB_Lm4ESC_lEENS6_INS7_ISA_lLm2ESC_lEENSF_ILm3ElEElLm3ESC_lEENS6_INS7_ISA_SB_Lm2ESC_lEESJ_SB_Lm3ESC_lEEPKSB_l,comdat
.Lfunc_end1:
	.size	_ZN2at6native12_GLOBAL__N_135nll_loss2d_forward_no_reduce_kernelIfEEvlN5torch10headeronly6detail27GenericPackedTensorAccessorINS5_14TensorAccessorIN3c108ArrayRefIlEET_Lm3ENS4_16DefaultPtrTraitsElEENS_6detail16IndexBoundsCheckILm4ElEESB_Lm4ESC_lEENS6_INS7_ISA_lLm2ESC_lEENSF_ILm3ElEElLm3ESC_lEENS6_INS7_ISA_SB_Lm2ESC_lEESJ_SB_Lm3ESC_lEEPKSB_l, .Lfunc_end1-_ZN2at6native12_GLOBAL__N_135nll_loss2d_forward_no_reduce_kernelIfEEvlN5torch10headeronly6detail27GenericPackedTensorAccessorINS5_14TensorAccessorIN3c108ArrayRefIlEET_Lm3ENS4_16DefaultPtrTraitsElEENS_6detail16IndexBoundsCheckILm4ElEESB_Lm4ESC_lEENS6_INS7_ISA_lLm2ESC_lEENSF_ILm3ElEElLm3ESC_lEENS6_INS7_ISA_SB_Lm2ESC_lEESJ_SB_Lm3ESC_lEEPKSB_l
                                        ; -- End function
	.section	.AMDGPU.csdata,"",@progbits
; Kernel info:
; codeLenInByte = 5212
; NumSgprs: 58
; NumVgprs: 26
; ScratchSize: 0
; MemoryBound: 0
; FloatMode: 240
; IeeeMode: 1
; LDSByteSize: 0 bytes/workgroup (compile time only)
; SGPRBlocks: 7
; VGPRBlocks: 3
; NumSGPRsForWavesPerEU: 58
; NumVGPRsForWavesPerEU: 26
; Occupancy: 16
; WaveLimiterHint : 1
; COMPUTE_PGM_RSRC2:SCRATCH_EN: 0
; COMPUTE_PGM_RSRC2:USER_SGPR: 15
; COMPUTE_PGM_RSRC2:TRAP_HANDLER: 0
; COMPUTE_PGM_RSRC2:TGID_X_EN: 1
; COMPUTE_PGM_RSRC2:TGID_Y_EN: 0
; COMPUTE_PGM_RSRC2:TGID_Z_EN: 0
; COMPUTE_PGM_RSRC2:TIDIG_COMP_CNT: 0
	.section	.text._ZN2at6native12_GLOBAL__N_135nll_loss2d_forward_no_reduce_kernelIN3c104HalfEEEvlN5torch10headeronly6detail27GenericPackedTensorAccessorINS7_14TensorAccessorINS3_8ArrayRefIlEET_Lm3ENS6_16DefaultPtrTraitsElEENS_6detail16IndexBoundsCheckILm4ElEESC_Lm4ESD_lEENS8_INS9_ISB_lLm2ESD_lEENSG_ILm3ElEElLm3ESD_lEENS8_INS9_ISB_SC_Lm2ESD_lEESK_SC_Lm3ESD_lEEPKSC_l,"axG",@progbits,_ZN2at6native12_GLOBAL__N_135nll_loss2d_forward_no_reduce_kernelIN3c104HalfEEEvlN5torch10headeronly6detail27GenericPackedTensorAccessorINS7_14TensorAccessorINS3_8ArrayRefIlEET_Lm3ENS6_16DefaultPtrTraitsElEENS_6detail16IndexBoundsCheckILm4ElEESC_Lm4ESD_lEENS8_INS9_ISB_lLm2ESD_lEENSG_ILm3ElEElLm3ESD_lEENS8_INS9_ISB_SC_Lm2ESD_lEESK_SC_Lm3ESD_lEEPKSC_l,comdat
	.globl	_ZN2at6native12_GLOBAL__N_135nll_loss2d_forward_no_reduce_kernelIN3c104HalfEEEvlN5torch10headeronly6detail27GenericPackedTensorAccessorINS7_14TensorAccessorINS3_8ArrayRefIlEET_Lm3ENS6_16DefaultPtrTraitsElEENS_6detail16IndexBoundsCheckILm4ElEESC_Lm4ESD_lEENS8_INS9_ISB_lLm2ESD_lEENSG_ILm3ElEElLm3ESD_lEENS8_INS9_ISB_SC_Lm2ESD_lEESK_SC_Lm3ESD_lEEPKSC_l ; -- Begin function _ZN2at6native12_GLOBAL__N_135nll_loss2d_forward_no_reduce_kernelIN3c104HalfEEEvlN5torch10headeronly6detail27GenericPackedTensorAccessorINS7_14TensorAccessorINS3_8ArrayRefIlEET_Lm3ENS6_16DefaultPtrTraitsElEENS_6detail16IndexBoundsCheckILm4ElEESC_Lm4ESD_lEENS8_INS9_ISB_lLm2ESD_lEENSG_ILm3ElEElLm3ESD_lEENS8_INS9_ISB_SC_Lm2ESD_lEESK_SC_Lm3ESD_lEEPKSC_l
	.p2align	8
	.type	_ZN2at6native12_GLOBAL__N_135nll_loss2d_forward_no_reduce_kernelIN3c104HalfEEEvlN5torch10headeronly6detail27GenericPackedTensorAccessorINS7_14TensorAccessorINS3_8ArrayRefIlEET_Lm3ENS6_16DefaultPtrTraitsElEENS_6detail16IndexBoundsCheckILm4ElEESC_Lm4ESD_lEENS8_INS9_ISB_lLm2ESD_lEENSG_ILm3ElEElLm3ESD_lEENS8_INS9_ISB_SC_Lm2ESD_lEESK_SC_Lm3ESD_lEEPKSC_l,@function
_ZN2at6native12_GLOBAL__N_135nll_loss2d_forward_no_reduce_kernelIN3c104HalfEEEvlN5torch10headeronly6detail27GenericPackedTensorAccessorINS7_14TensorAccessorINS3_8ArrayRefIlEET_Lm3ENS6_16DefaultPtrTraitsElEENS_6detail16IndexBoundsCheckILm4ElEESC_Lm4ESD_lEENS8_INS9_ISB_lLm2ESD_lEENSG_ILm3ElEElLm3ESD_lEENS8_INS9_ISB_SC_Lm2ESD_lEESK_SC_Lm3ESD_lEEPKSC_l: ; @_ZN2at6native12_GLOBAL__N_135nll_loss2d_forward_no_reduce_kernelIN3c104HalfEEEvlN5torch10headeronly6detail27GenericPackedTensorAccessorINS7_14TensorAccessorINS3_8ArrayRefIlEET_Lm3ENS6_16DefaultPtrTraitsElEENS_6detail16IndexBoundsCheckILm4ElEESC_Lm4ESD_lEENS8_INS9_ISB_lLm2ESD_lEENSG_ILm3ElEElLm3ESD_lEENS8_INS9_ISB_SC_Lm2ESD_lEESK_SC_Lm3ESD_lEEPKSC_l
; %bb.0:
	s_clause 0x1
	s_load_b32 s4, s[0:1], 0xdc
	s_load_b64 s[2:3], s[0:1], 0x0
	v_mov_b32_e32 v2, 0
	s_add_u32 s20, s0, 0xd0
	s_addc_u32 s21, s1, 0
	s_delay_alu instid0(VALU_DEP_1) | instskip(SKIP_3) | instid1(VALU_DEP_1)
	v_mov_b32_e32 v1, v2
	s_waitcnt lgkmcnt(0)
	s_and_b32 s44, s4, 0xffff
	s_mov_b32 s4, exec_lo
	v_mad_u64_u32 v[4:5], null, s44, s15, v[0:1]
	s_delay_alu instid0(VALU_DEP_1)
	v_cmpx_gt_i64_e64 s[2:3], v[4:5]
	s_cbranch_execz .LBB2_31
; %bb.1:
	s_clause 0x3
	s_load_b256 s[4:11], s[0:1], 0x10
	s_load_b128 s[28:31], s[0:1], 0xc0
	s_load_b64 s[34:35], s[0:1], 0x8
	s_load_b256 s[12:19], s[0:1], 0x30
	s_load_b32 s45, s[20:21], 0x0
	s_clause 0x3
	s_load_b64 s[40:41], s[0:1], 0x50
	s_load_b256 s[20:27], s[0:1], 0x70
	s_load_b64 s[42:43], s[0:1], 0xb8
	s_load_b128 s[36:39], s[0:1], 0xa8
	s_mov_b32 s49, 0
                                        ; implicit-def: $sgpr51
                                        ; implicit-def: $sgpr53
	s_waitcnt lgkmcnt(0)
	v_cvt_f32_u32_e32 v0, s4
	s_mul_i32 s0, s8, s5
	s_mul_hi_u32 s1, s8, s4
	s_mul_i32 s33, s9, s4
	s_add_i32 s0, s1, s0
	v_rcp_iflag_f32_e32 v0, v0
	v_mov_b32_e32 v3, v4
	s_add_i32 s1, s0, s33
	s_cmp_lg_u64 s[28:29], 0
	s_mul_i32 s50, s45, s44
	s_mul_i32 s33, s8, s4
	s_cselect_b32 s48, -1, 0
	s_mov_b32 s52, s50
	s_waitcnt_depctr 0xfff
	v_mul_f32_e32 v0, 0x4f7ffffe, v0
	s_delay_alu instid0(VALU_DEP_1)
	v_cvt_u32_f32_e32 v14, v0
	v_dual_mov_b32 v0, v2 :: v_dual_mov_b32 v1, v3
	s_branch .LBB2_3
.LBB2_2:                                ;   in Loop: Header=BB2_3 Depth=1
	s_or_b32 exec_lo, exec_lo, s44
	s_delay_alu instid0(SALU_CYCLE_1) | instskip(NEXT) | instid1(SALU_CYCLE_1)
	s_and_b32 s0, exec_lo, s45
	s_or_b32 s49, s0, s49
	s_and_not1_b32 s0, s51, exec_lo
	s_and_b32 s44, s53, exec_lo
	s_delay_alu instid0(SALU_CYCLE_1)
	s_or_b32 s51, s0, s44
	s_and_not1_b32 exec_lo, exec_lo, s49
	s_cbranch_execz .LBB2_30
.LBB2_3:                                ; =>This Inner Loop Header: Depth=1
	s_delay_alu instid0(VALU_DEP_1) | instskip(SKIP_2) | instid1(VALU_DEP_2)
	v_ashrrev_i32_e32 v15, 31, v1
	v_mov_b32_e32 v16, v1
                                        ; implicit-def: $vgpr6_vgpr7
	s_mov_b32 s0, exec_lo
	v_or_b32_e32 v3, s5, v15
	s_delay_alu instid0(VALU_DEP_1)
	v_cmpx_ne_u64_e32 0, v[2:3]
	s_xor_b32 s54, exec_lo, s0
	s_cbranch_execz .LBB2_5
; %bb.4:                                ;   in Loop: Header=BB2_3 Depth=1
	s_ashr_i32 s44, s5, 31
	s_delay_alu instid0(SALU_CYCLE_1) | instskip(SKIP_2) | instid1(SALU_CYCLE_1)
	s_add_u32 s46, s4, s44
	s_mov_b32 s45, s44
	s_addc_u32 s47, s5, s44
	s_xor_b64 s[46:47], s[46:47], s[44:45]
	s_delay_alu instid0(SALU_CYCLE_1) | instskip(SKIP_3) | instid1(VALU_DEP_1)
	v_cvt_f32_u32_e32 v3, s46
	v_cvt_f32_u32_e32 v6, s47
	s_sub_u32 s0, 0, s46
	s_subb_u32 s45, 0, s47
	v_fmac_f32_e32 v3, 0x4f800000, v6
	s_delay_alu instid0(VALU_DEP_1) | instskip(SKIP_2) | instid1(VALU_DEP_1)
	v_rcp_f32_e32 v3, v3
	s_waitcnt_depctr 0xfff
	v_mul_f32_e32 v3, 0x5f7ffffc, v3
	v_mul_f32_e32 v6, 0x2f800000, v3
	s_delay_alu instid0(VALU_DEP_1) | instskip(NEXT) | instid1(VALU_DEP_1)
	v_trunc_f32_e32 v6, v6
	v_fmac_f32_e32 v3, 0xcf800000, v6
	v_cvt_u32_f32_e32 v6, v6
	s_delay_alu instid0(VALU_DEP_2) | instskip(NEXT) | instid1(VALU_DEP_2)
	v_cvt_u32_f32_e32 v3, v3
	v_mul_lo_u32 v7, s0, v6
	s_delay_alu instid0(VALU_DEP_2) | instskip(SKIP_1) | instid1(VALU_DEP_2)
	v_mul_hi_u32 v8, s0, v3
	v_mul_lo_u32 v9, s45, v3
	v_add_nc_u32_e32 v7, v8, v7
	v_mul_lo_u32 v8, s0, v3
	s_delay_alu instid0(VALU_DEP_2) | instskip(NEXT) | instid1(VALU_DEP_2)
	v_add_nc_u32_e32 v7, v7, v9
	v_mul_hi_u32 v9, v3, v8
	s_delay_alu instid0(VALU_DEP_2)
	v_mul_lo_u32 v10, v3, v7
	v_mul_hi_u32 v11, v3, v7
	v_mul_hi_u32 v12, v6, v8
	v_mul_lo_u32 v8, v6, v8
	v_mul_hi_u32 v13, v6, v7
	v_mul_lo_u32 v7, v6, v7
	v_add_co_u32 v9, vcc_lo, v9, v10
	v_add_co_ci_u32_e32 v10, vcc_lo, 0, v11, vcc_lo
	s_delay_alu instid0(VALU_DEP_2) | instskip(NEXT) | instid1(VALU_DEP_2)
	v_add_co_u32 v8, vcc_lo, v9, v8
	v_add_co_ci_u32_e32 v8, vcc_lo, v10, v12, vcc_lo
	v_add_co_ci_u32_e32 v9, vcc_lo, 0, v13, vcc_lo
	v_ashrrev_i32_e32 v12, 31, v15
	s_delay_alu instid0(VALU_DEP_3) | instskip(NEXT) | instid1(VALU_DEP_3)
	v_add_co_u32 v7, vcc_lo, v8, v7
	v_add_co_ci_u32_e32 v8, vcc_lo, 0, v9, vcc_lo
	s_delay_alu instid0(VALU_DEP_2) | instskip(NEXT) | instid1(VALU_DEP_2)
	v_add_co_u32 v3, vcc_lo, v3, v7
	v_add_co_ci_u32_e32 v6, vcc_lo, v6, v8, vcc_lo
	s_delay_alu instid0(VALU_DEP_2) | instskip(SKIP_1) | instid1(VALU_DEP_3)
	v_mul_hi_u32 v7, s0, v3
	v_mul_lo_u32 v9, s45, v3
	v_mul_lo_u32 v8, s0, v6
	s_delay_alu instid0(VALU_DEP_1) | instskip(SKIP_1) | instid1(VALU_DEP_2)
	v_add_nc_u32_e32 v7, v7, v8
	v_mul_lo_u32 v8, s0, v3
	v_add_nc_u32_e32 v7, v7, v9
	s_delay_alu instid0(VALU_DEP_2) | instskip(NEXT) | instid1(VALU_DEP_2)
	v_mul_hi_u32 v9, v3, v8
	v_mul_lo_u32 v10, v3, v7
	v_mul_hi_u32 v11, v3, v7
	v_mul_hi_u32 v13, v6, v8
	v_mul_lo_u32 v8, v6, v8
	v_mul_hi_u32 v17, v6, v7
	v_mul_lo_u32 v7, v6, v7
	v_add_co_u32 v9, vcc_lo, v9, v10
	v_add_co_ci_u32_e32 v10, vcc_lo, 0, v11, vcc_lo
	s_delay_alu instid0(VALU_DEP_2) | instskip(NEXT) | instid1(VALU_DEP_2)
	v_add_co_u32 v8, vcc_lo, v9, v8
	v_add_co_ci_u32_e32 v8, vcc_lo, v10, v13, vcc_lo
	v_add_co_ci_u32_e32 v9, vcc_lo, 0, v17, vcc_lo
	v_add_co_u32 v10, vcc_lo, v16, v12
	v_add_co_ci_u32_e32 v11, vcc_lo, v15, v12, vcc_lo
	s_delay_alu instid0(VALU_DEP_4) | instskip(NEXT) | instid1(VALU_DEP_4)
	v_add_co_u32 v7, vcc_lo, v8, v7
	v_add_co_ci_u32_e32 v8, vcc_lo, 0, v9, vcc_lo
	s_delay_alu instid0(VALU_DEP_4) | instskip(NEXT) | instid1(VALU_DEP_3)
	v_xor_b32_e32 v13, v10, v12
	v_add_co_u32 v3, vcc_lo, v3, v7
	s_delay_alu instid0(VALU_DEP_3) | instskip(SKIP_1) | instid1(VALU_DEP_3)
	v_add_co_ci_u32_e32 v17, vcc_lo, v6, v8, vcc_lo
	v_xor_b32_e32 v18, v11, v12
	v_mul_hi_u32 v19, v13, v3
	s_delay_alu instid0(VALU_DEP_3) | instskip(NEXT) | instid1(VALU_DEP_3)
	v_mad_u64_u32 v[6:7], null, v13, v17, 0
	v_mad_u64_u32 v[8:9], null, v18, v3, 0
	;; [unrolled: 1-line block ×3, first 2 shown]
	s_delay_alu instid0(VALU_DEP_3) | instskip(NEXT) | instid1(VALU_DEP_4)
	v_add_co_u32 v3, vcc_lo, v19, v6
	v_add_co_ci_u32_e32 v6, vcc_lo, 0, v7, vcc_lo
	s_delay_alu instid0(VALU_DEP_2) | instskip(NEXT) | instid1(VALU_DEP_2)
	v_add_co_u32 v3, vcc_lo, v3, v8
	v_add_co_ci_u32_e32 v3, vcc_lo, v6, v9, vcc_lo
	v_add_co_ci_u32_e32 v6, vcc_lo, 0, v11, vcc_lo
	s_delay_alu instid0(VALU_DEP_2) | instskip(NEXT) | instid1(VALU_DEP_2)
	v_add_co_u32 v3, vcc_lo, v3, v10
	v_add_co_ci_u32_e32 v8, vcc_lo, 0, v6, vcc_lo
	s_delay_alu instid0(VALU_DEP_2) | instskip(SKIP_1) | instid1(VALU_DEP_3)
	v_mul_lo_u32 v9, s47, v3
	v_mad_u64_u32 v[6:7], null, s46, v3, 0
	v_mul_lo_u32 v10, s46, v8
	s_delay_alu instid0(VALU_DEP_2) | instskip(NEXT) | instid1(VALU_DEP_2)
	v_sub_co_u32 v6, vcc_lo, v13, v6
	v_add3_u32 v7, v7, v10, v9
	s_delay_alu instid0(VALU_DEP_1) | instskip(NEXT) | instid1(VALU_DEP_1)
	v_sub_nc_u32_e32 v9, v18, v7
	v_subrev_co_ci_u32_e64 v9, s0, s47, v9, vcc_lo
	v_add_co_u32 v10, s0, v3, 2
	s_delay_alu instid0(VALU_DEP_1) | instskip(SKIP_3) | instid1(VALU_DEP_3)
	v_add_co_ci_u32_e64 v11, s0, 0, v8, s0
	v_sub_co_u32 v13, s0, v6, s46
	v_sub_co_ci_u32_e32 v7, vcc_lo, v18, v7, vcc_lo
	v_subrev_co_ci_u32_e64 v9, s0, 0, v9, s0
	v_cmp_le_u32_e32 vcc_lo, s46, v13
	s_delay_alu instid0(VALU_DEP_3) | instskip(SKIP_1) | instid1(VALU_DEP_4)
	v_cmp_eq_u32_e64 s0, s47, v7
	v_cndmask_b32_e64 v13, 0, -1, vcc_lo
	v_cmp_le_u32_e32 vcc_lo, s47, v9
	v_cndmask_b32_e64 v17, 0, -1, vcc_lo
	v_cmp_le_u32_e32 vcc_lo, s46, v6
	;; [unrolled: 2-line block ×3, first 2 shown]
	v_cndmask_b32_e64 v18, 0, -1, vcc_lo
	v_cmp_eq_u32_e32 vcc_lo, s47, v9
	s_delay_alu instid0(VALU_DEP_2) | instskip(SKIP_3) | instid1(VALU_DEP_3)
	v_cndmask_b32_e64 v6, v18, v6, s0
	v_cndmask_b32_e32 v9, v17, v13, vcc_lo
	v_add_co_u32 v13, vcc_lo, v3, 1
	v_add_co_ci_u32_e32 v17, vcc_lo, 0, v8, vcc_lo
	v_cmp_ne_u32_e32 vcc_lo, 0, v9
	s_delay_alu instid0(VALU_DEP_2) | instskip(NEXT) | instid1(VALU_DEP_4)
	v_cndmask_b32_e32 v7, v17, v11, vcc_lo
	v_cndmask_b32_e32 v9, v13, v10, vcc_lo
	v_cmp_ne_u32_e32 vcc_lo, 0, v6
	v_xor_b32_e32 v10, s44, v12
	s_delay_alu instid0(VALU_DEP_3) | instskip(NEXT) | instid1(VALU_DEP_1)
	v_dual_cndmask_b32 v3, v3, v9 :: v_dual_cndmask_b32 v6, v8, v7
	v_xor_b32_e32 v3, v3, v10
	s_delay_alu instid0(VALU_DEP_2) | instskip(NEXT) | instid1(VALU_DEP_2)
	v_xor_b32_e32 v7, v6, v10
	v_sub_co_u32 v6, vcc_lo, v3, v10
	s_delay_alu instid0(VALU_DEP_2)
	v_sub_co_ci_u32_e32 v7, vcc_lo, v7, v10, vcc_lo
.LBB2_5:                                ;   in Loop: Header=BB2_3 Depth=1
	s_and_not1_saveexec_b32 s0, s54
	s_cbranch_execz .LBB2_7
; %bb.6:                                ;   in Loop: Header=BB2_3 Depth=1
	s_sub_i32 s44, 0, s4
	s_delay_alu instid0(SALU_CYCLE_1) | instskip(NEXT) | instid1(VALU_DEP_1)
	v_mul_lo_u32 v3, s44, v14
	v_mul_hi_u32 v3, v14, v3
	s_delay_alu instid0(VALU_DEP_1) | instskip(NEXT) | instid1(VALU_DEP_1)
	v_add_nc_u32_e32 v3, v14, v3
	v_mul_hi_u32 v3, v16, v3
	s_delay_alu instid0(VALU_DEP_1) | instskip(NEXT) | instid1(VALU_DEP_1)
	v_mul_lo_u32 v6, v3, s4
	v_sub_nc_u32_e32 v6, v16, v6
	s_delay_alu instid0(VALU_DEP_1) | instskip(SKIP_1) | instid1(VALU_DEP_2)
	v_subrev_nc_u32_e32 v8, s4, v6
	v_cmp_le_u32_e32 vcc_lo, s4, v6
	v_dual_cndmask_b32 v6, v6, v8 :: v_dual_add_nc_u32 v7, 1, v3
	s_delay_alu instid0(VALU_DEP_1) | instskip(NEXT) | instid1(VALU_DEP_2)
	v_cndmask_b32_e32 v3, v3, v7, vcc_lo
	v_cmp_le_u32_e32 vcc_lo, s4, v6
	s_delay_alu instid0(VALU_DEP_2) | instskip(NEXT) | instid1(VALU_DEP_1)
	v_add_nc_u32_e32 v7, 1, v3
	v_dual_cndmask_b32 v6, v3, v7 :: v_dual_mov_b32 v7, v2
.LBB2_7:                                ;   in Loop: Header=BB2_3 Depth=1
	s_or_b32 exec_lo, exec_lo, s0
	s_delay_alu instid0(VALU_DEP_1) | instskip(SKIP_1) | instid1(VALU_DEP_1)
	v_or_b32_e32 v3, s9, v7
                                        ; implicit-def: $vgpr8_vgpr9
	s_mov_b32 s0, exec_lo
	v_cmpx_ne_u64_e32 0, v[2:3]
	s_xor_b32 s46, exec_lo, s0
	s_cbranch_execz .LBB2_9
; %bb.8:                                ;   in Loop: Header=BB2_3 Depth=1
	s_ashr_i32 s44, s9, 31
	s_delay_alu instid0(SALU_CYCLE_1) | instskip(SKIP_2) | instid1(SALU_CYCLE_1)
	s_add_u32 s54, s8, s44
	s_mov_b32 s45, s44
	s_addc_u32 s55, s9, s44
	s_xor_b64 s[44:45], s[54:55], s[44:45]
	s_delay_alu instid0(SALU_CYCLE_1) | instskip(SKIP_3) | instid1(VALU_DEP_1)
	v_cvt_f32_u32_e32 v3, s44
	v_cvt_f32_u32_e32 v8, s45
	s_sub_u32 s0, 0, s44
	s_subb_u32 s47, 0, s45
	v_fmac_f32_e32 v3, 0x4f800000, v8
	s_delay_alu instid0(VALU_DEP_1) | instskip(SKIP_2) | instid1(VALU_DEP_1)
	v_rcp_f32_e32 v3, v3
	s_waitcnt_depctr 0xfff
	v_mul_f32_e32 v3, 0x5f7ffffc, v3
	v_mul_f32_e32 v8, 0x2f800000, v3
	s_delay_alu instid0(VALU_DEP_1) | instskip(NEXT) | instid1(VALU_DEP_1)
	v_trunc_f32_e32 v8, v8
	v_fmac_f32_e32 v3, 0xcf800000, v8
	v_cvt_u32_f32_e32 v8, v8
	s_delay_alu instid0(VALU_DEP_2) | instskip(NEXT) | instid1(VALU_DEP_2)
	v_cvt_u32_f32_e32 v3, v3
	v_mul_lo_u32 v9, s0, v8
	s_delay_alu instid0(VALU_DEP_2) | instskip(SKIP_1) | instid1(VALU_DEP_2)
	v_mul_hi_u32 v10, s0, v3
	v_mul_lo_u32 v11, s47, v3
	v_add_nc_u32_e32 v9, v10, v9
	v_mul_lo_u32 v10, s0, v3
	s_delay_alu instid0(VALU_DEP_2) | instskip(NEXT) | instid1(VALU_DEP_2)
	v_add_nc_u32_e32 v9, v9, v11
	v_mul_hi_u32 v11, v3, v10
	s_delay_alu instid0(VALU_DEP_2)
	v_mul_lo_u32 v12, v3, v9
	v_mul_hi_u32 v13, v3, v9
	v_mul_hi_u32 v17, v8, v10
	v_mul_lo_u32 v10, v8, v10
	v_mul_hi_u32 v18, v8, v9
	v_mul_lo_u32 v9, v8, v9
	v_add_co_u32 v11, vcc_lo, v11, v12
	v_add_co_ci_u32_e32 v12, vcc_lo, 0, v13, vcc_lo
	s_delay_alu instid0(VALU_DEP_2) | instskip(NEXT) | instid1(VALU_DEP_2)
	v_add_co_u32 v10, vcc_lo, v11, v10
	v_add_co_ci_u32_e32 v10, vcc_lo, v12, v17, vcc_lo
	v_add_co_ci_u32_e32 v11, vcc_lo, 0, v18, vcc_lo
	v_ashrrev_i32_e32 v17, 31, v7
	s_delay_alu instid0(VALU_DEP_3) | instskip(NEXT) | instid1(VALU_DEP_3)
	v_add_co_u32 v9, vcc_lo, v10, v9
	v_add_co_ci_u32_e32 v10, vcc_lo, 0, v11, vcc_lo
	s_delay_alu instid0(VALU_DEP_2) | instskip(NEXT) | instid1(VALU_DEP_2)
	v_add_co_u32 v3, vcc_lo, v3, v9
	v_add_co_ci_u32_e32 v8, vcc_lo, v8, v10, vcc_lo
	s_delay_alu instid0(VALU_DEP_2) | instskip(SKIP_1) | instid1(VALU_DEP_3)
	v_mul_hi_u32 v9, s0, v3
	v_mul_lo_u32 v11, s47, v3
	v_mul_lo_u32 v10, s0, v8
	s_delay_alu instid0(VALU_DEP_1) | instskip(SKIP_1) | instid1(VALU_DEP_2)
	v_add_nc_u32_e32 v9, v9, v10
	v_mul_lo_u32 v10, s0, v3
	v_add_nc_u32_e32 v9, v9, v11
	s_delay_alu instid0(VALU_DEP_2) | instskip(NEXT) | instid1(VALU_DEP_2)
	v_mul_hi_u32 v11, v3, v10
	v_mul_lo_u32 v12, v3, v9
	v_mul_hi_u32 v13, v3, v9
	v_mul_hi_u32 v18, v8, v10
	v_mul_lo_u32 v10, v8, v10
	v_mul_hi_u32 v19, v8, v9
	v_mul_lo_u32 v9, v8, v9
	v_add_co_u32 v11, vcc_lo, v11, v12
	v_add_co_ci_u32_e32 v12, vcc_lo, 0, v13, vcc_lo
	s_delay_alu instid0(VALU_DEP_2) | instskip(NEXT) | instid1(VALU_DEP_2)
	v_add_co_u32 v10, vcc_lo, v11, v10
	v_add_co_ci_u32_e32 v10, vcc_lo, v12, v18, vcc_lo
	v_add_co_ci_u32_e32 v11, vcc_lo, 0, v19, vcc_lo
	v_add_co_u32 v12, vcc_lo, v6, v17
	v_add_co_ci_u32_e32 v13, vcc_lo, v7, v17, vcc_lo
	s_delay_alu instid0(VALU_DEP_4) | instskip(NEXT) | instid1(VALU_DEP_4)
	v_add_co_u32 v9, vcc_lo, v10, v9
	v_add_co_ci_u32_e32 v10, vcc_lo, 0, v11, vcc_lo
	s_delay_alu instid0(VALU_DEP_4) | instskip(NEXT) | instid1(VALU_DEP_3)
	v_xor_b32_e32 v18, v12, v17
	v_add_co_u32 v3, vcc_lo, v3, v9
	s_delay_alu instid0(VALU_DEP_3) | instskip(SKIP_1) | instid1(VALU_DEP_3)
	v_add_co_ci_u32_e32 v19, vcc_lo, v8, v10, vcc_lo
	v_xor_b32_e32 v20, v13, v17
	v_mul_hi_u32 v21, v18, v3
	s_delay_alu instid0(VALU_DEP_3) | instskip(NEXT) | instid1(VALU_DEP_3)
	v_mad_u64_u32 v[8:9], null, v18, v19, 0
	v_mad_u64_u32 v[10:11], null, v20, v3, 0
	;; [unrolled: 1-line block ×3, first 2 shown]
	s_delay_alu instid0(VALU_DEP_3) | instskip(NEXT) | instid1(VALU_DEP_4)
	v_add_co_u32 v3, vcc_lo, v21, v8
	v_add_co_ci_u32_e32 v8, vcc_lo, 0, v9, vcc_lo
	s_delay_alu instid0(VALU_DEP_2) | instskip(NEXT) | instid1(VALU_DEP_2)
	v_add_co_u32 v3, vcc_lo, v3, v10
	v_add_co_ci_u32_e32 v3, vcc_lo, v8, v11, vcc_lo
	v_add_co_ci_u32_e32 v8, vcc_lo, 0, v13, vcc_lo
	s_delay_alu instid0(VALU_DEP_2) | instskip(NEXT) | instid1(VALU_DEP_2)
	v_add_co_u32 v3, vcc_lo, v3, v12
	v_add_co_ci_u32_e32 v10, vcc_lo, 0, v8, vcc_lo
	s_delay_alu instid0(VALU_DEP_2) | instskip(SKIP_1) | instid1(VALU_DEP_3)
	v_mul_lo_u32 v11, s45, v3
	v_mad_u64_u32 v[8:9], null, s44, v3, 0
	v_mul_lo_u32 v3, s44, v10
	s_delay_alu instid0(VALU_DEP_2) | instskip(NEXT) | instid1(VALU_DEP_2)
	v_sub_co_u32 v8, vcc_lo, v18, v8
	v_add3_u32 v3, v9, v3, v11
	s_delay_alu instid0(VALU_DEP_1) | instskip(NEXT) | instid1(VALU_DEP_1)
	v_sub_nc_u32_e32 v9, v20, v3
	v_subrev_co_ci_u32_e64 v9, s0, s45, v9, vcc_lo
	v_sub_co_ci_u32_e32 v3, vcc_lo, v20, v3, vcc_lo
	v_sub_co_u32 v10, vcc_lo, v8, s44
	s_delay_alu instid0(VALU_DEP_1) | instskip(SKIP_3) | instid1(VALU_DEP_3)
	v_subrev_co_ci_u32_e64 v11, s0, 0, v9, vcc_lo
	v_cmp_le_u32_e64 s0, s44, v8
	v_subrev_co_ci_u32_e32 v9, vcc_lo, s45, v9, vcc_lo
	v_cmp_le_u32_e32 vcc_lo, s45, v3
	v_cndmask_b32_e64 v12, 0, -1, s0
	v_cmp_le_u32_e64 s0, s44, v10
	v_cndmask_b32_e64 v19, 0, -1, vcc_lo
	v_cmp_eq_u32_e32 vcc_lo, s45, v11
	s_delay_alu instid0(VALU_DEP_3) | instskip(SKIP_1) | instid1(VALU_DEP_1)
	v_cndmask_b32_e64 v13, 0, -1, s0
	v_cmp_le_u32_e64 s0, s45, v11
	v_cndmask_b32_e64 v18, 0, -1, s0
	v_cmp_eq_u32_e64 s0, s45, v3
	s_delay_alu instid0(VALU_DEP_2) | instskip(SKIP_2) | instid1(VALU_DEP_3)
	v_cndmask_b32_e32 v13, v18, v13, vcc_lo
	v_sub_co_u32 v18, vcc_lo, v10, s44
	v_subrev_co_ci_u32_e32 v9, vcc_lo, 0, v9, vcc_lo
	v_cmp_ne_u32_e32 vcc_lo, 0, v13
	v_cndmask_b32_e64 v12, v19, v12, s0
	s_delay_alu instid0(VALU_DEP_3) | instskip(NEXT) | instid1(VALU_DEP_2)
	v_dual_cndmask_b32 v9, v11, v9 :: v_dual_cndmask_b32 v10, v10, v18
	v_cmp_ne_u32_e32 vcc_lo, 0, v12
	s_delay_alu instid0(VALU_DEP_2) | instskip(NEXT) | instid1(VALU_DEP_1)
	v_dual_cndmask_b32 v8, v8, v10 :: v_dual_cndmask_b32 v3, v3, v9
	v_xor_b32_e32 v8, v8, v17
	s_delay_alu instid0(VALU_DEP_2) | instskip(NEXT) | instid1(VALU_DEP_2)
	v_xor_b32_e32 v3, v3, v17
	v_sub_co_u32 v8, vcc_lo, v8, v17
	s_delay_alu instid0(VALU_DEP_2)
	v_sub_co_ci_u32_e32 v9, vcc_lo, v3, v17, vcc_lo
.LBB2_9:                                ;   in Loop: Header=BB2_3 Depth=1
	s_and_not1_saveexec_b32 s0, s46
	s_cbranch_execz .LBB2_11
; %bb.10:                               ;   in Loop: Header=BB2_3 Depth=1
	v_cvt_f32_u32_e32 v3, s8
	s_sub_i32 s44, 0, s8
	v_mov_b32_e32 v9, v2
	s_delay_alu instid0(VALU_DEP_2) | instskip(SKIP_2) | instid1(VALU_DEP_1)
	v_rcp_iflag_f32_e32 v3, v3
	s_waitcnt_depctr 0xfff
	v_mul_f32_e32 v3, 0x4f7ffffe, v3
	v_cvt_u32_f32_e32 v3, v3
	s_delay_alu instid0(VALU_DEP_1) | instskip(NEXT) | instid1(VALU_DEP_1)
	v_mul_lo_u32 v8, s44, v3
	v_mul_hi_u32 v8, v3, v8
	s_delay_alu instid0(VALU_DEP_1) | instskip(NEXT) | instid1(VALU_DEP_1)
	v_add_nc_u32_e32 v3, v3, v8
	v_mul_hi_u32 v3, v6, v3
	s_delay_alu instid0(VALU_DEP_1) | instskip(NEXT) | instid1(VALU_DEP_1)
	v_mul_lo_u32 v3, v3, s8
	v_sub_nc_u32_e32 v3, v6, v3
	s_delay_alu instid0(VALU_DEP_1) | instskip(SKIP_1) | instid1(VALU_DEP_2)
	v_subrev_nc_u32_e32 v8, s8, v3
	v_cmp_le_u32_e32 vcc_lo, s8, v3
	v_cndmask_b32_e32 v3, v3, v8, vcc_lo
	s_delay_alu instid0(VALU_DEP_1) | instskip(SKIP_1) | instid1(VALU_DEP_2)
	v_subrev_nc_u32_e32 v8, s8, v3
	v_cmp_le_u32_e32 vcc_lo, s8, v3
	v_cndmask_b32_e32 v8, v3, v8, vcc_lo
.LBB2_11:                               ;   in Loop: Header=BB2_3 Depth=1
	s_or_b32 exec_lo, exec_lo, s0
	v_or_b32_e32 v3, s1, v15
                                        ; implicit-def: $vgpr12_vgpr13
	s_mov_b32 s0, exec_lo
	s_delay_alu instid0(VALU_DEP_1)
	v_cmpx_ne_u64_e32 0, v[2:3]
	s_xor_b32 s54, exec_lo, s0
	s_cbranch_execz .LBB2_13
; %bb.12:                               ;   in Loop: Header=BB2_3 Depth=1
	s_ashr_i32 s44, s1, 31
	s_delay_alu instid0(SALU_CYCLE_1) | instskip(SKIP_2) | instid1(SALU_CYCLE_1)
	s_add_u32 s46, s33, s44
	s_mov_b32 s45, s44
	s_addc_u32 s47, s1, s44
	s_xor_b64 s[46:47], s[46:47], s[44:45]
	s_delay_alu instid0(SALU_CYCLE_1) | instskip(SKIP_3) | instid1(VALU_DEP_1)
	v_cvt_f32_u32_e32 v3, s46
	v_cvt_f32_u32_e32 v10, s47
	s_sub_u32 s0, 0, s46
	s_subb_u32 s45, 0, s47
	v_fmac_f32_e32 v3, 0x4f800000, v10
	s_delay_alu instid0(VALU_DEP_1) | instskip(SKIP_2) | instid1(VALU_DEP_1)
	v_rcp_f32_e32 v3, v3
	s_waitcnt_depctr 0xfff
	v_mul_f32_e32 v3, 0x5f7ffffc, v3
	v_mul_f32_e32 v10, 0x2f800000, v3
	s_delay_alu instid0(VALU_DEP_1) | instskip(NEXT) | instid1(VALU_DEP_1)
	v_trunc_f32_e32 v10, v10
	v_fmac_f32_e32 v3, 0xcf800000, v10
	v_cvt_u32_f32_e32 v10, v10
	s_delay_alu instid0(VALU_DEP_2) | instskip(NEXT) | instid1(VALU_DEP_2)
	v_cvt_u32_f32_e32 v3, v3
	v_mul_lo_u32 v11, s0, v10
	s_delay_alu instid0(VALU_DEP_2) | instskip(SKIP_1) | instid1(VALU_DEP_2)
	v_mul_hi_u32 v12, s0, v3
	v_mul_lo_u32 v13, s45, v3
	v_add_nc_u32_e32 v11, v12, v11
	v_mul_lo_u32 v12, s0, v3
	s_delay_alu instid0(VALU_DEP_2) | instskip(NEXT) | instid1(VALU_DEP_2)
	v_add_nc_u32_e32 v11, v11, v13
	v_mul_hi_u32 v13, v3, v12
	s_delay_alu instid0(VALU_DEP_2)
	v_mul_lo_u32 v17, v3, v11
	v_mul_hi_u32 v18, v3, v11
	v_mul_hi_u32 v19, v10, v12
	v_mul_lo_u32 v12, v10, v12
	v_mul_hi_u32 v20, v10, v11
	v_mul_lo_u32 v11, v10, v11
	v_add_co_u32 v13, vcc_lo, v13, v17
	v_add_co_ci_u32_e32 v17, vcc_lo, 0, v18, vcc_lo
	s_delay_alu instid0(VALU_DEP_2) | instskip(NEXT) | instid1(VALU_DEP_2)
	v_add_co_u32 v12, vcc_lo, v13, v12
	v_add_co_ci_u32_e32 v12, vcc_lo, v17, v19, vcc_lo
	v_add_co_ci_u32_e32 v13, vcc_lo, 0, v20, vcc_lo
	v_ashrrev_i32_e32 v19, 31, v15
	s_delay_alu instid0(VALU_DEP_3) | instskip(NEXT) | instid1(VALU_DEP_3)
	v_add_co_u32 v11, vcc_lo, v12, v11
	v_add_co_ci_u32_e32 v12, vcc_lo, 0, v13, vcc_lo
	s_delay_alu instid0(VALU_DEP_2) | instskip(NEXT) | instid1(VALU_DEP_2)
	v_add_co_u32 v3, vcc_lo, v3, v11
	v_add_co_ci_u32_e32 v10, vcc_lo, v10, v12, vcc_lo
	s_delay_alu instid0(VALU_DEP_2) | instskip(SKIP_1) | instid1(VALU_DEP_3)
	v_mul_hi_u32 v11, s0, v3
	v_mul_lo_u32 v13, s45, v3
	v_mul_lo_u32 v12, s0, v10
	s_delay_alu instid0(VALU_DEP_1) | instskip(SKIP_1) | instid1(VALU_DEP_2)
	v_add_nc_u32_e32 v11, v11, v12
	v_mul_lo_u32 v12, s0, v3
	v_add_nc_u32_e32 v11, v11, v13
	s_delay_alu instid0(VALU_DEP_2) | instskip(NEXT) | instid1(VALU_DEP_2)
	v_mul_hi_u32 v13, v3, v12
	v_mul_lo_u32 v17, v3, v11
	v_mul_hi_u32 v18, v3, v11
	v_mul_hi_u32 v20, v10, v12
	v_mul_lo_u32 v12, v10, v12
	v_mul_hi_u32 v21, v10, v11
	v_mul_lo_u32 v11, v10, v11
	v_add_co_u32 v13, vcc_lo, v13, v17
	v_add_co_ci_u32_e32 v17, vcc_lo, 0, v18, vcc_lo
	s_delay_alu instid0(VALU_DEP_2) | instskip(NEXT) | instid1(VALU_DEP_2)
	v_add_co_u32 v12, vcc_lo, v13, v12
	v_add_co_ci_u32_e32 v12, vcc_lo, v17, v20, vcc_lo
	v_add_co_ci_u32_e32 v13, vcc_lo, 0, v21, vcc_lo
	v_add_co_u32 v17, vcc_lo, v16, v19
	v_add_co_ci_u32_e32 v18, vcc_lo, v15, v19, vcc_lo
	s_delay_alu instid0(VALU_DEP_4) | instskip(NEXT) | instid1(VALU_DEP_4)
	v_add_co_u32 v11, vcc_lo, v12, v11
	v_add_co_ci_u32_e32 v12, vcc_lo, 0, v13, vcc_lo
	s_delay_alu instid0(VALU_DEP_4) | instskip(NEXT) | instid1(VALU_DEP_3)
	v_xor_b32_e32 v20, v17, v19
	v_add_co_u32 v3, vcc_lo, v3, v11
	s_delay_alu instid0(VALU_DEP_3) | instskip(SKIP_1) | instid1(VALU_DEP_3)
	v_add_co_ci_u32_e32 v21, vcc_lo, v10, v12, vcc_lo
	v_xor_b32_e32 v22, v18, v19
	v_mul_hi_u32 v23, v20, v3
	s_delay_alu instid0(VALU_DEP_3) | instskip(NEXT) | instid1(VALU_DEP_3)
	v_mad_u64_u32 v[10:11], null, v20, v21, 0
	v_mad_u64_u32 v[12:13], null, v22, v3, 0
	;; [unrolled: 1-line block ×3, first 2 shown]
	s_delay_alu instid0(VALU_DEP_3) | instskip(NEXT) | instid1(VALU_DEP_4)
	v_add_co_u32 v3, vcc_lo, v23, v10
	v_add_co_ci_u32_e32 v10, vcc_lo, 0, v11, vcc_lo
	s_delay_alu instid0(VALU_DEP_2) | instskip(NEXT) | instid1(VALU_DEP_2)
	v_add_co_u32 v3, vcc_lo, v3, v12
	v_add_co_ci_u32_e32 v3, vcc_lo, v10, v13, vcc_lo
	v_add_co_ci_u32_e32 v10, vcc_lo, 0, v18, vcc_lo
	s_delay_alu instid0(VALU_DEP_2) | instskip(NEXT) | instid1(VALU_DEP_2)
	v_add_co_u32 v3, vcc_lo, v3, v17
	v_add_co_ci_u32_e32 v12, vcc_lo, 0, v10, vcc_lo
	s_delay_alu instid0(VALU_DEP_2) | instskip(SKIP_1) | instid1(VALU_DEP_3)
	v_mul_lo_u32 v13, s47, v3
	v_mad_u64_u32 v[10:11], null, s46, v3, 0
	v_mul_lo_u32 v17, s46, v12
	s_delay_alu instid0(VALU_DEP_2) | instskip(NEXT) | instid1(VALU_DEP_2)
	v_sub_co_u32 v10, vcc_lo, v20, v10
	v_add3_u32 v11, v11, v17, v13
	s_delay_alu instid0(VALU_DEP_1) | instskip(NEXT) | instid1(VALU_DEP_1)
	v_sub_nc_u32_e32 v13, v22, v11
	v_subrev_co_ci_u32_e64 v13, s0, s47, v13, vcc_lo
	v_add_co_u32 v17, s0, v3, 2
	s_delay_alu instid0(VALU_DEP_1) | instskip(SKIP_3) | instid1(VALU_DEP_3)
	v_add_co_ci_u32_e64 v18, s0, 0, v12, s0
	v_sub_co_u32 v20, s0, v10, s46
	v_sub_co_ci_u32_e32 v11, vcc_lo, v22, v11, vcc_lo
	v_subrev_co_ci_u32_e64 v13, s0, 0, v13, s0
	v_cmp_le_u32_e32 vcc_lo, s46, v20
	s_delay_alu instid0(VALU_DEP_3) | instskip(SKIP_1) | instid1(VALU_DEP_4)
	v_cmp_eq_u32_e64 s0, s47, v11
	v_cndmask_b32_e64 v20, 0, -1, vcc_lo
	v_cmp_le_u32_e32 vcc_lo, s47, v13
	v_cndmask_b32_e64 v21, 0, -1, vcc_lo
	v_cmp_le_u32_e32 vcc_lo, s46, v10
	;; [unrolled: 2-line block ×3, first 2 shown]
	v_cndmask_b32_e64 v22, 0, -1, vcc_lo
	v_cmp_eq_u32_e32 vcc_lo, s47, v13
	s_delay_alu instid0(VALU_DEP_2) | instskip(SKIP_3) | instid1(VALU_DEP_3)
	v_cndmask_b32_e64 v10, v22, v10, s0
	v_cndmask_b32_e32 v13, v21, v20, vcc_lo
	v_add_co_u32 v20, vcc_lo, v3, 1
	v_add_co_ci_u32_e32 v21, vcc_lo, 0, v12, vcc_lo
	v_cmp_ne_u32_e32 vcc_lo, 0, v13
	s_delay_alu instid0(VALU_DEP_2) | instskip(NEXT) | instid1(VALU_DEP_4)
	v_cndmask_b32_e32 v11, v21, v18, vcc_lo
	v_cndmask_b32_e32 v13, v20, v17, vcc_lo
	v_cmp_ne_u32_e32 vcc_lo, 0, v10
	v_xor_b32_e32 v10, s44, v19
	s_delay_alu instid0(VALU_DEP_3) | instskip(SKIP_1) | instid1(VALU_DEP_2)
	v_cndmask_b32_e32 v3, v3, v13, vcc_lo
	v_cndmask_b32_e32 v11, v12, v11, vcc_lo
	v_xor_b32_e32 v3, v3, v10
	s_delay_alu instid0(VALU_DEP_2) | instskip(NEXT) | instid1(VALU_DEP_2)
	v_xor_b32_e32 v11, v11, v10
	v_sub_co_u32 v12, vcc_lo, v3, v10
	s_delay_alu instid0(VALU_DEP_2)
	v_sub_co_ci_u32_e32 v13, vcc_lo, v11, v10, vcc_lo
.LBB2_13:                               ;   in Loop: Header=BB2_3 Depth=1
	s_and_not1_saveexec_b32 s0, s54
	s_cbranch_execz .LBB2_15
; %bb.14:                               ;   in Loop: Header=BB2_3 Depth=1
	v_cvt_f32_u32_e32 v3, s33
	s_sub_i32 s44, 0, s33
	v_mov_b32_e32 v13, v2
	s_delay_alu instid0(VALU_DEP_2) | instskip(SKIP_2) | instid1(VALU_DEP_1)
	v_rcp_iflag_f32_e32 v3, v3
	s_waitcnt_depctr 0xfff
	v_mul_f32_e32 v3, 0x4f7ffffe, v3
	v_cvt_u32_f32_e32 v3, v3
	s_delay_alu instid0(VALU_DEP_1) | instskip(NEXT) | instid1(VALU_DEP_1)
	v_mul_lo_u32 v10, s44, v3
	v_mul_hi_u32 v10, v3, v10
	s_delay_alu instid0(VALU_DEP_1) | instskip(NEXT) | instid1(VALU_DEP_1)
	v_add_nc_u32_e32 v3, v3, v10
	v_mul_hi_u32 v3, v1, v3
	s_delay_alu instid0(VALU_DEP_1) | instskip(SKIP_1) | instid1(VALU_DEP_2)
	v_mul_lo_u32 v10, v3, s33
	v_add_nc_u32_e32 v11, 1, v3
	v_sub_nc_u32_e32 v10, v1, v10
	s_delay_alu instid0(VALU_DEP_1) | instskip(SKIP_1) | instid1(VALU_DEP_2)
	v_subrev_nc_u32_e32 v12, s33, v10
	v_cmp_le_u32_e32 vcc_lo, s33, v10
	v_dual_cndmask_b32 v10, v10, v12 :: v_dual_cndmask_b32 v3, v3, v11
	s_delay_alu instid0(VALU_DEP_1) | instskip(NEXT) | instid1(VALU_DEP_2)
	v_cmp_le_u32_e32 vcc_lo, s33, v10
	v_add_nc_u32_e32 v11, 1, v3
	s_delay_alu instid0(VALU_DEP_1)
	v_cndmask_b32_e32 v12, v3, v11, vcc_lo
.LBB2_15:                               ;   in Loop: Header=BB2_3 Depth=1
	s_or_b32 exec_lo, exec_lo, s0
	s_delay_alu instid0(VALU_DEP_1) | instskip(SKIP_1) | instid1(VALU_DEP_1)
	v_or_b32_e32 v3, s11, v13
                                        ; implicit-def: $vgpr10_vgpr11
	s_mov_b32 s0, exec_lo
	v_cmpx_ne_u64_e32 0, v[2:3]
	s_xor_b32 s46, exec_lo, s0
	s_cbranch_execz .LBB2_17
; %bb.16:                               ;   in Loop: Header=BB2_3 Depth=1
	s_ashr_i32 s44, s11, 31
	s_delay_alu instid0(SALU_CYCLE_1) | instskip(SKIP_2) | instid1(SALU_CYCLE_1)
	s_add_u32 s54, s10, s44
	s_mov_b32 s45, s44
	s_addc_u32 s55, s11, s44
	s_xor_b64 s[44:45], s[54:55], s[44:45]
	s_delay_alu instid0(SALU_CYCLE_1) | instskip(SKIP_3) | instid1(VALU_DEP_1)
	v_cvt_f32_u32_e32 v3, s44
	v_cvt_f32_u32_e32 v10, s45
	s_sub_u32 s0, 0, s44
	s_subb_u32 s47, 0, s45
	v_fmac_f32_e32 v3, 0x4f800000, v10
	s_delay_alu instid0(VALU_DEP_1) | instskip(SKIP_2) | instid1(VALU_DEP_1)
	v_rcp_f32_e32 v3, v3
	s_waitcnt_depctr 0xfff
	v_mul_f32_e32 v3, 0x5f7ffffc, v3
	v_mul_f32_e32 v10, 0x2f800000, v3
	s_delay_alu instid0(VALU_DEP_1) | instskip(NEXT) | instid1(VALU_DEP_1)
	v_trunc_f32_e32 v10, v10
	v_fmac_f32_e32 v3, 0xcf800000, v10
	v_cvt_u32_f32_e32 v10, v10
	s_delay_alu instid0(VALU_DEP_2) | instskip(NEXT) | instid1(VALU_DEP_2)
	v_cvt_u32_f32_e32 v3, v3
	v_mul_lo_u32 v11, s0, v10
	s_delay_alu instid0(VALU_DEP_2) | instskip(SKIP_1) | instid1(VALU_DEP_2)
	v_mul_hi_u32 v17, s0, v3
	v_mul_lo_u32 v18, s47, v3
	v_add_nc_u32_e32 v11, v17, v11
	v_mul_lo_u32 v17, s0, v3
	s_delay_alu instid0(VALU_DEP_2) | instskip(NEXT) | instid1(VALU_DEP_2)
	v_add_nc_u32_e32 v11, v11, v18
	v_mul_hi_u32 v18, v3, v17
	s_delay_alu instid0(VALU_DEP_2)
	v_mul_lo_u32 v19, v3, v11
	v_mul_hi_u32 v20, v3, v11
	v_mul_hi_u32 v21, v10, v17
	v_mul_lo_u32 v17, v10, v17
	v_mul_hi_u32 v22, v10, v11
	v_mul_lo_u32 v11, v10, v11
	v_add_co_u32 v18, vcc_lo, v18, v19
	v_add_co_ci_u32_e32 v19, vcc_lo, 0, v20, vcc_lo
	s_delay_alu instid0(VALU_DEP_2) | instskip(NEXT) | instid1(VALU_DEP_2)
	v_add_co_u32 v17, vcc_lo, v18, v17
	v_add_co_ci_u32_e32 v17, vcc_lo, v19, v21, vcc_lo
	v_add_co_ci_u32_e32 v18, vcc_lo, 0, v22, vcc_lo
	v_ashrrev_i32_e32 v21, 31, v13
	s_delay_alu instid0(VALU_DEP_3) | instskip(NEXT) | instid1(VALU_DEP_3)
	v_add_co_u32 v11, vcc_lo, v17, v11
	v_add_co_ci_u32_e32 v17, vcc_lo, 0, v18, vcc_lo
	s_delay_alu instid0(VALU_DEP_2) | instskip(NEXT) | instid1(VALU_DEP_2)
	v_add_co_u32 v3, vcc_lo, v3, v11
	v_add_co_ci_u32_e32 v10, vcc_lo, v10, v17, vcc_lo
	s_delay_alu instid0(VALU_DEP_2) | instskip(SKIP_1) | instid1(VALU_DEP_3)
	v_mul_hi_u32 v11, s0, v3
	v_mul_lo_u32 v18, s47, v3
	v_mul_lo_u32 v17, s0, v10
	s_delay_alu instid0(VALU_DEP_1) | instskip(SKIP_1) | instid1(VALU_DEP_2)
	v_add_nc_u32_e32 v11, v11, v17
	v_mul_lo_u32 v17, s0, v3
	v_add_nc_u32_e32 v11, v11, v18
	s_delay_alu instid0(VALU_DEP_2) | instskip(NEXT) | instid1(VALU_DEP_2)
	v_mul_hi_u32 v18, v3, v17
	v_mul_lo_u32 v19, v3, v11
	v_mul_hi_u32 v20, v3, v11
	v_mul_hi_u32 v22, v10, v17
	v_mul_lo_u32 v17, v10, v17
	v_mul_hi_u32 v23, v10, v11
	v_mul_lo_u32 v11, v10, v11
	v_add_co_u32 v18, vcc_lo, v18, v19
	v_add_co_ci_u32_e32 v19, vcc_lo, 0, v20, vcc_lo
	s_delay_alu instid0(VALU_DEP_2) | instskip(NEXT) | instid1(VALU_DEP_2)
	v_add_co_u32 v17, vcc_lo, v18, v17
	v_add_co_ci_u32_e32 v17, vcc_lo, v19, v22, vcc_lo
	v_add_co_ci_u32_e32 v18, vcc_lo, 0, v23, vcc_lo
	v_add_co_u32 v12, vcc_lo, v12, v21
	v_add_co_ci_u32_e32 v13, vcc_lo, v13, v21, vcc_lo
	s_delay_alu instid0(VALU_DEP_4) | instskip(NEXT) | instid1(VALU_DEP_4)
	v_add_co_u32 v11, vcc_lo, v17, v11
	v_add_co_ci_u32_e32 v17, vcc_lo, 0, v18, vcc_lo
	s_delay_alu instid0(VALU_DEP_4) | instskip(NEXT) | instid1(VALU_DEP_3)
	v_xor_b32_e32 v19, v12, v21
	v_add_co_u32 v3, vcc_lo, v3, v11
	s_delay_alu instid0(VALU_DEP_3) | instskip(SKIP_1) | instid1(VALU_DEP_3)
	v_add_co_ci_u32_e32 v20, vcc_lo, v10, v17, vcc_lo
	v_xor_b32_e32 v22, v13, v21
	v_mul_hi_u32 v23, v19, v3
	s_delay_alu instid0(VALU_DEP_3) | instskip(NEXT) | instid1(VALU_DEP_3)
	v_mad_u64_u32 v[10:11], null, v19, v20, 0
	v_mad_u64_u32 v[12:13], null, v22, v3, 0
	;; [unrolled: 1-line block ×3, first 2 shown]
	s_delay_alu instid0(VALU_DEP_3) | instskip(NEXT) | instid1(VALU_DEP_4)
	v_add_co_u32 v3, vcc_lo, v23, v10
	v_add_co_ci_u32_e32 v10, vcc_lo, 0, v11, vcc_lo
	s_delay_alu instid0(VALU_DEP_2) | instskip(NEXT) | instid1(VALU_DEP_2)
	v_add_co_u32 v3, vcc_lo, v3, v12
	v_add_co_ci_u32_e32 v3, vcc_lo, v10, v13, vcc_lo
	v_add_co_ci_u32_e32 v10, vcc_lo, 0, v18, vcc_lo
	s_delay_alu instid0(VALU_DEP_2) | instskip(NEXT) | instid1(VALU_DEP_2)
	v_add_co_u32 v3, vcc_lo, v3, v17
	v_add_co_ci_u32_e32 v12, vcc_lo, 0, v10, vcc_lo
	s_delay_alu instid0(VALU_DEP_2) | instskip(SKIP_1) | instid1(VALU_DEP_3)
	v_mul_lo_u32 v13, s45, v3
	v_mad_u64_u32 v[10:11], null, s44, v3, 0
	v_mul_lo_u32 v3, s44, v12
	s_delay_alu instid0(VALU_DEP_2) | instskip(NEXT) | instid1(VALU_DEP_2)
	v_sub_co_u32 v10, vcc_lo, v19, v10
	v_add3_u32 v3, v11, v3, v13
	s_delay_alu instid0(VALU_DEP_1) | instskip(NEXT) | instid1(VALU_DEP_1)
	v_sub_nc_u32_e32 v11, v22, v3
	v_subrev_co_ci_u32_e64 v11, s0, s45, v11, vcc_lo
	v_sub_co_ci_u32_e32 v3, vcc_lo, v22, v3, vcc_lo
	v_sub_co_u32 v12, vcc_lo, v10, s44
	s_delay_alu instid0(VALU_DEP_1) | instskip(SKIP_3) | instid1(VALU_DEP_3)
	v_subrev_co_ci_u32_e64 v13, s0, 0, v11, vcc_lo
	v_cmp_le_u32_e64 s0, s44, v10
	v_subrev_co_ci_u32_e32 v11, vcc_lo, s45, v11, vcc_lo
	v_cmp_le_u32_e32 vcc_lo, s45, v3
	v_cndmask_b32_e64 v17, 0, -1, s0
	v_cmp_le_u32_e64 s0, s44, v12
	v_cndmask_b32_e64 v20, 0, -1, vcc_lo
	v_cmp_eq_u32_e32 vcc_lo, s45, v13
	s_delay_alu instid0(VALU_DEP_3) | instskip(SKIP_1) | instid1(VALU_DEP_1)
	v_cndmask_b32_e64 v18, 0, -1, s0
	v_cmp_le_u32_e64 s0, s45, v13
	v_cndmask_b32_e64 v19, 0, -1, s0
	v_cmp_eq_u32_e64 s0, s45, v3
	s_delay_alu instid0(VALU_DEP_2) | instskip(SKIP_2) | instid1(VALU_DEP_3)
	v_cndmask_b32_e32 v18, v19, v18, vcc_lo
	v_sub_co_u32 v19, vcc_lo, v12, s44
	v_subrev_co_ci_u32_e32 v11, vcc_lo, 0, v11, vcc_lo
	v_cmp_ne_u32_e32 vcc_lo, 0, v18
	v_cndmask_b32_e64 v17, v20, v17, s0
	s_delay_alu instid0(VALU_DEP_3) | instskip(SKIP_1) | instid1(VALU_DEP_3)
	v_cndmask_b32_e32 v11, v13, v11, vcc_lo
	v_cndmask_b32_e32 v12, v12, v19, vcc_lo
	v_cmp_ne_u32_e32 vcc_lo, 0, v17
	s_delay_alu instid0(VALU_DEP_2) | instskip(NEXT) | instid1(VALU_DEP_1)
	v_dual_cndmask_b32 v10, v10, v12 :: v_dual_cndmask_b32 v3, v3, v11
                                        ; implicit-def: $vgpr12_vgpr13
	v_xor_b32_e32 v10, v10, v21
	s_delay_alu instid0(VALU_DEP_2) | instskip(NEXT) | instid1(VALU_DEP_2)
	v_xor_b32_e32 v3, v3, v21
	v_sub_co_u32 v10, vcc_lo, v10, v21
	s_delay_alu instid0(VALU_DEP_2)
	v_sub_co_ci_u32_e32 v11, vcc_lo, v3, v21, vcc_lo
.LBB2_17:                               ;   in Loop: Header=BB2_3 Depth=1
	s_and_not1_saveexec_b32 s0, s46
	s_cbranch_execz .LBB2_19
; %bb.18:                               ;   in Loop: Header=BB2_3 Depth=1
	v_cvt_f32_u32_e32 v3, s10
	s_sub_i32 s44, 0, s10
	v_mov_b32_e32 v11, v2
	s_delay_alu instid0(VALU_DEP_2) | instskip(SKIP_2) | instid1(VALU_DEP_1)
	v_rcp_iflag_f32_e32 v3, v3
	s_waitcnt_depctr 0xfff
	v_mul_f32_e32 v3, 0x4f7ffffe, v3
	v_cvt_u32_f32_e32 v3, v3
	s_delay_alu instid0(VALU_DEP_1) | instskip(NEXT) | instid1(VALU_DEP_1)
	v_mul_lo_u32 v10, s44, v3
	v_mul_hi_u32 v10, v3, v10
	s_delay_alu instid0(VALU_DEP_1) | instskip(NEXT) | instid1(VALU_DEP_1)
	v_add_nc_u32_e32 v3, v3, v10
	v_mul_hi_u32 v3, v12, v3
	s_delay_alu instid0(VALU_DEP_1) | instskip(NEXT) | instid1(VALU_DEP_1)
	v_mul_lo_u32 v3, v3, s10
	v_sub_nc_u32_e32 v3, v12, v3
	s_delay_alu instid0(VALU_DEP_1) | instskip(SKIP_1) | instid1(VALU_DEP_2)
	v_subrev_nc_u32_e32 v10, s10, v3
	v_cmp_le_u32_e32 vcc_lo, s10, v3
	v_cndmask_b32_e32 v3, v3, v10, vcc_lo
	s_delay_alu instid0(VALU_DEP_1) | instskip(SKIP_1) | instid1(VALU_DEP_2)
	v_subrev_nc_u32_e32 v10, s10, v3
	v_cmp_le_u32_e32 vcc_lo, s10, v3
	v_cndmask_b32_e32 v10, v3, v10, vcc_lo
.LBB2_19:                               ;   in Loop: Header=BB2_3 Depth=1
	s_or_b32 exec_lo, exec_lo, s0
	v_mul_lo_u32 v3, v7, s4
	v_mul_lo_u32 v7, v6, s5
	v_mad_u64_u32 v[12:13], null, v6, s4, 0
	v_mul_lo_u32 v19, s23, v8
	v_mul_lo_u32 v20, s22, v9
	;; [unrolled: 1-line block ×4, first 2 shown]
	s_mov_b32 s0, 0
	s_mov_b32 s44, exec_lo
	v_add3_u32 v6, v13, v7, v3
	v_sub_co_u32 v3, vcc_lo, v16, v12
                                        ; implicit-def: $sgpr45
	s_delay_alu instid0(VALU_DEP_2) | instskip(NEXT) | instid1(VALU_DEP_2)
	v_sub_co_ci_u32_e32 v12, vcc_lo, v15, v6, vcc_lo
	v_mul_lo_u32 v13, s21, v3
	v_mad_u64_u32 v[6:7], null, s20, v3, 0
	s_delay_alu instid0(VALU_DEP_3) | instskip(SKIP_1) | instid1(VALU_DEP_2)
	v_mul_lo_u32 v17, s20, v12
	v_mad_u64_u32 v[15:16], null, s22, v8, 0
	v_add3_u32 v7, v7, v17, v13
	v_mad_u64_u32 v[17:18], null, s24, v10, 0
	s_delay_alu instid0(VALU_DEP_3) | instskip(NEXT) | instid1(VALU_DEP_3)
	v_add3_u32 v16, v16, v20, v19
	v_lshlrev_b64 v[6:7], 3, v[6:7]
	s_delay_alu instid0(VALU_DEP_2) | instskip(NEXT) | instid1(VALU_DEP_4)
	v_lshlrev_b64 v[15:16], 3, v[15:16]
	v_add3_u32 v18, v18, v22, v21
	s_delay_alu instid0(VALU_DEP_3) | instskip(NEXT) | instid1(VALU_DEP_4)
	v_add_co_u32 v13, vcc_lo, s40, v6
	v_add_co_ci_u32_e32 v19, vcc_lo, s41, v7, vcc_lo
	s_delay_alu instid0(VALU_DEP_3) | instskip(NEXT) | instid1(VALU_DEP_3)
	v_lshlrev_b64 v[6:7], 3, v[17:18]
	v_add_co_u32 v13, vcc_lo, v13, v15
	s_delay_alu instid0(VALU_DEP_3) | instskip(NEXT) | instid1(VALU_DEP_2)
	v_add_co_ci_u32_e32 v15, vcc_lo, v19, v16, vcc_lo
	v_add_co_u32 v6, vcc_lo, v13, v6
	s_delay_alu instid0(VALU_DEP_2)
	v_add_co_ci_u32_e32 v7, vcc_lo, v15, v7, vcc_lo
	global_load_b64 v[6:7], v[6:7], off
	s_waitcnt vmcnt(0)
	v_cmpx_ne_u64_e64 s[30:31], v[6:7]
	s_xor_b32 s44, exec_lo, s44
	s_cbranch_execz .LBB2_26
; %bb.20:                               ;   in Loop: Header=BB2_3 Depth=1
	v_cmp_lt_i64_e32 vcc_lo, -1, v[6:7]
	v_cmp_gt_i64_e64 s0, s[6:7], v[6:7]
	s_mov_b32 s46, 0
	s_delay_alu instid0(VALU_DEP_1) | instskip(NEXT) | instid1(SALU_CYCLE_1)
	s_and_b32 s45, vcc_lo, s0
	s_and_saveexec_b32 s0, s45
	s_cbranch_execz .LBB2_25
; %bb.21:                               ;   in Loop: Header=BB2_3 Depth=1
	v_mul_lo_u32 v13, s13, v3
	v_mul_lo_u32 v19, s12, v12
	v_mad_u64_u32 v[15:16], null, s12, v3, 0
	v_mul_lo_u32 v21, s15, v6
	v_mul_lo_u32 v22, s14, v7
	v_mad_u64_u32 v[17:18], null, s14, v6, 0
	v_mul_lo_u32 v23, s16, v9
	v_mul_lo_u32 v24, s19, v10
	v_add3_u32 v16, v16, v19, v13
	v_mul_lo_u32 v13, s17, v8
	v_mad_u64_u32 v[19:20], null, s16, v8, 0
	v_add3_u32 v18, v18, v22, v21
	s_delay_alu instid0(VALU_DEP_4) | instskip(SKIP_2) | instid1(VALU_DEP_4)
	v_lshlrev_b64 v[15:16], 1, v[15:16]
	v_mul_lo_u32 v25, s18, v11
	v_mad_u64_u32 v[21:22], null, s18, v10, 0
	v_lshlrev_b64 v[17:18], 1, v[17:18]
	v_add3_u32 v20, v20, v23, v13
	v_add_co_u32 v13, vcc_lo, s34, v15
	v_add_co_ci_u32_e32 v23, vcc_lo, s35, v16, vcc_lo
	s_delay_alu instid0(VALU_DEP_3) | instskip(SKIP_1) | instid1(VALU_DEP_4)
	v_lshlrev_b64 v[15:16], 1, v[19:20]
	v_add3_u32 v22, v22, v25, v24
	v_add_co_u32 v13, vcc_lo, v13, v17
	s_delay_alu instid0(VALU_DEP_4) | instskip(NEXT) | instid1(VALU_DEP_3)
	v_add_co_ci_u32_e32 v19, vcc_lo, v23, v18, vcc_lo
	v_lshlrev_b64 v[17:18], 1, v[21:22]
	s_delay_alu instid0(VALU_DEP_3) | instskip(NEXT) | instid1(VALU_DEP_3)
	v_add_co_u32 v13, vcc_lo, v13, v15
	v_add_co_ci_u32_e32 v16, vcc_lo, v19, v16, vcc_lo
	s_delay_alu instid0(VALU_DEP_2) | instskip(NEXT) | instid1(VALU_DEP_2)
	v_add_co_u32 v15, vcc_lo, v13, v17
	v_add_co_ci_u32_e32 v16, vcc_lo, v16, v18, vcc_lo
	s_and_not1_b32 vcc_lo, exec_lo, s48
	global_load_u16 v13, v[15:16], off
	s_cbranch_vccnz .LBB2_23
; %bb.22:                               ;   in Loop: Header=BB2_3 Depth=1
	v_lshlrev_b64 v[6:7], 1, v[6:7]
	s_delay_alu instid0(VALU_DEP_1) | instskip(NEXT) | instid1(VALU_DEP_2)
	v_add_co_u32 v6, vcc_lo, s28, v6
	v_add_co_ci_u32_e32 v7, vcc_lo, s29, v7, vcc_lo
	global_load_u16 v6, v[6:7], off
	s_branch .LBB2_24
.LBB2_23:                               ;   in Loop: Header=BB2_3 Depth=1
	v_mov_b32_e32 v6, 0x3c00
.LBB2_24:                               ;   in Loop: Header=BB2_3 Depth=1
	v_mul_lo_u32 v7, s37, v3
	v_mul_lo_u32 v12, s36, v12
	v_mad_u64_u32 v[15:16], null, s36, v3, 0
	v_mul_lo_u32 v3, s39, v8
	v_mul_lo_u32 v9, s38, v9
	v_mad_u64_u32 v[17:18], null, s38, v8, 0
	v_mul_lo_u32 v11, s42, v11
	s_mov_b32 s46, exec_lo
	v_add3_u32 v16, v16, v12, v7
	v_mul_lo_u32 v12, s43, v10
	v_mad_u64_u32 v[7:8], null, s42, v10, 0
	v_add3_u32 v18, v18, v9, v3
	s_delay_alu instid0(VALU_DEP_4) | instskip(NEXT) | instid1(VALU_DEP_3)
	v_lshlrev_b64 v[9:10], 1, v[15:16]
	v_add3_u32 v8, v8, v11, v12
	s_delay_alu instid0(VALU_DEP_3) | instskip(NEXT) | instid1(VALU_DEP_3)
	v_lshlrev_b64 v[11:12], 1, v[17:18]
	v_add_co_u32 v3, vcc_lo, s26, v9
	s_delay_alu instid0(VALU_DEP_4) | instskip(NEXT) | instid1(VALU_DEP_4)
	v_add_co_ci_u32_e32 v9, vcc_lo, s27, v10, vcc_lo
	v_lshlrev_b64 v[7:8], 1, v[7:8]
	s_delay_alu instid0(VALU_DEP_3) | instskip(NEXT) | instid1(VALU_DEP_3)
	v_add_co_u32 v3, vcc_lo, v3, v11
	v_add_co_ci_u32_e32 v9, vcc_lo, v9, v12, vcc_lo
	s_waitcnt vmcnt(0)
	v_mul_f16_e64 v10, v6, -v13
	s_delay_alu instid0(VALU_DEP_3) | instskip(NEXT) | instid1(VALU_DEP_3)
	v_add_co_u32 v6, vcc_lo, v3, v7
	v_add_co_ci_u32_e32 v7, vcc_lo, v9, v8, vcc_lo
	global_store_b16 v[6:7], v10, off
.LBB2_25:                               ;   in Loop: Header=BB2_3 Depth=1
	s_or_b32 exec_lo, exec_lo, s0
	s_mov_b32 s45, -1
	s_and_b32 s0, s46, exec_lo
                                        ; implicit-def: $vgpr3
                                        ; implicit-def: $vgpr12
                                        ; implicit-def: $vgpr8_vgpr9
                                        ; implicit-def: $vgpr10_vgpr11
.LBB2_26:                               ;   in Loop: Header=BB2_3 Depth=1
	s_and_not1_saveexec_b32 s44, s44
	s_cbranch_execz .LBB2_28
; %bb.27:                               ;   in Loop: Header=BB2_3 Depth=1
	v_mul_lo_u32 v15, s37, v3
	v_mul_lo_u32 v16, s36, v12
	v_mad_u64_u32 v[6:7], null, s36, v3, 0
	v_mul_lo_u32 v3, s39, v8
	v_mul_lo_u32 v17, s38, v9
	v_mad_u64_u32 v[12:13], null, s38, v8, 0
	v_mul_lo_u32 v11, s42, v11
	v_mad_u64_u32 v[8:9], null, s42, v10, 0
	v_add3_u32 v7, v7, v16, v15
	v_mul_lo_u32 v15, s43, v10
	s_or_b32 s0, s0, exec_lo
	v_add3_u32 v13, v13, v17, v3
	s_delay_alu instid0(VALU_DEP_3) | instskip(NEXT) | instid1(VALU_DEP_3)
	v_lshlrev_b64 v[6:7], 1, v[6:7]
	v_add3_u32 v9, v9, v11, v15
	s_delay_alu instid0(VALU_DEP_3) | instskip(NEXT) | instid1(VALU_DEP_3)
	v_lshlrev_b64 v[10:11], 1, v[12:13]
	v_add_co_u32 v3, vcc_lo, s26, v6
	s_delay_alu instid0(VALU_DEP_4) | instskip(NEXT) | instid1(VALU_DEP_4)
	v_add_co_ci_u32_e32 v12, vcc_lo, s27, v7, vcc_lo
	v_lshlrev_b64 v[6:7], 1, v[8:9]
	s_delay_alu instid0(VALU_DEP_3) | instskip(NEXT) | instid1(VALU_DEP_3)
	v_add_co_u32 v3, vcc_lo, v3, v10
	v_add_co_ci_u32_e32 v8, vcc_lo, v12, v11, vcc_lo
	s_delay_alu instid0(VALU_DEP_2) | instskip(NEXT) | instid1(VALU_DEP_2)
	v_add_co_u32 v6, vcc_lo, v3, v6
	v_add_co_ci_u32_e32 v7, vcc_lo, v8, v7, vcc_lo
	global_store_b16 v[6:7], v2, off
.LBB2_28:                               ;   in Loop: Header=BB2_3 Depth=1
	s_or_b32 exec_lo, exec_lo, s44
	s_delay_alu instid0(SALU_CYCLE_1)
	s_and_not1_b32 s44, s53, exec_lo
	s_and_b32 s46, s45, exec_lo
	s_mov_b32 s45, -1
	s_or_b32 s53, s44, s46
	s_and_saveexec_b32 s44, s0
	s_cbranch_execz .LBB2_2
; %bb.29:                               ;   in Loop: Header=BB2_3 Depth=1
	v_add_co_u32 v4, vcc_lo, v4, s50
	v_add_co_ci_u32_e32 v5, vcc_lo, 0, v5, vcc_lo
	v_add_co_u32 v0, s0, v0, 0
	s_delay_alu instid0(VALU_DEP_1) | instskip(NEXT) | instid1(VALU_DEP_3)
	v_add_co_ci_u32_e64 v1, s0, s52, v1, s0
	v_cmp_le_i64_e32 vcc_lo, s[2:3], v[4:5]
	s_and_not1_b32 s53, s53, exec_lo
	s_or_not1_b32 s45, vcc_lo, exec_lo
	s_branch .LBB2_2
.LBB2_30:
	s_or_b32 exec_lo, exec_lo, s49
	s_and_saveexec_b32 s0, s51
	s_delay_alu instid0(SALU_CYCLE_1)
	s_xor_b32 s0, exec_lo, s0
	s_cbranch_execnz .LBB2_32
.LBB2_31:
	s_nop 0
	s_sendmsg sendmsg(MSG_DEALLOC_VGPRS)
	s_endpgm
.LBB2_32:
	s_cbranch_execnz .LBB2_34
; %bb.33:
	; divergent unreachable
	s_nop 0
	s_sendmsg sendmsg(MSG_DEALLOC_VGPRS)
	s_endpgm
.LBB2_34:
	s_trap 2
	s_sendmsg_rtn_b32 s0, sendmsg(MSG_RTN_GET_DOORBELL)
	s_mov_b32 ttmp2, m0
	s_waitcnt lgkmcnt(0)
	s_and_b32 s0, s0, 0x3ff
	s_delay_alu instid0(SALU_CYCLE_1) | instskip(NEXT) | instid1(SALU_CYCLE_1)
	s_bitset1_b32 s0, 10
	s_mov_b32 m0, s0
	s_sendmsg sendmsg(MSG_INTERRUPT)
	s_mov_b32 m0, ttmp2
.LBB2_35:                               ; =>This Inner Loop Header: Depth=1
	s_sethalt 5
	s_branch .LBB2_35
	.section	.rodata,"a",@progbits
	.p2align	6, 0x0
	.amdhsa_kernel _ZN2at6native12_GLOBAL__N_135nll_loss2d_forward_no_reduce_kernelIN3c104HalfEEEvlN5torch10headeronly6detail27GenericPackedTensorAccessorINS7_14TensorAccessorINS3_8ArrayRefIlEET_Lm3ENS6_16DefaultPtrTraitsElEENS_6detail16IndexBoundsCheckILm4ElEESC_Lm4ESD_lEENS8_INS9_ISB_lLm2ESD_lEENSG_ILm3ElEElLm3ESD_lEENS8_INS9_ISB_SC_Lm2ESD_lEESK_SC_Lm3ESD_lEEPKSC_l
		.amdhsa_group_segment_fixed_size 0
		.amdhsa_private_segment_fixed_size 0
		.amdhsa_kernarg_size 464
		.amdhsa_user_sgpr_count 15
		.amdhsa_user_sgpr_dispatch_ptr 0
		.amdhsa_user_sgpr_queue_ptr 0
		.amdhsa_user_sgpr_kernarg_segment_ptr 1
		.amdhsa_user_sgpr_dispatch_id 0
		.amdhsa_user_sgpr_private_segment_size 0
		.amdhsa_wavefront_size32 1
		.amdhsa_uses_dynamic_stack 0
		.amdhsa_enable_private_segment 0
		.amdhsa_system_sgpr_workgroup_id_x 1
		.amdhsa_system_sgpr_workgroup_id_y 0
		.amdhsa_system_sgpr_workgroup_id_z 0
		.amdhsa_system_sgpr_workgroup_info 0
		.amdhsa_system_vgpr_workitem_id 0
		.amdhsa_next_free_vgpr 26
		.amdhsa_next_free_sgpr 56
		.amdhsa_reserve_vcc 1
		.amdhsa_float_round_mode_32 0
		.amdhsa_float_round_mode_16_64 0
		.amdhsa_float_denorm_mode_32 3
		.amdhsa_float_denorm_mode_16_64 3
		.amdhsa_dx10_clamp 1
		.amdhsa_ieee_mode 1
		.amdhsa_fp16_overflow 0
		.amdhsa_workgroup_processor_mode 1
		.amdhsa_memory_ordered 1
		.amdhsa_forward_progress 0
		.amdhsa_shared_vgpr_count 0
		.amdhsa_exception_fp_ieee_invalid_op 0
		.amdhsa_exception_fp_denorm_src 0
		.amdhsa_exception_fp_ieee_div_zero 0
		.amdhsa_exception_fp_ieee_overflow 0
		.amdhsa_exception_fp_ieee_underflow 0
		.amdhsa_exception_fp_ieee_inexact 0
		.amdhsa_exception_int_div_zero 0
	.end_amdhsa_kernel
	.section	.text._ZN2at6native12_GLOBAL__N_135nll_loss2d_forward_no_reduce_kernelIN3c104HalfEEEvlN5torch10headeronly6detail27GenericPackedTensorAccessorINS7_14TensorAccessorINS3_8ArrayRefIlEET_Lm3ENS6_16DefaultPtrTraitsElEENS_6detail16IndexBoundsCheckILm4ElEESC_Lm4ESD_lEENS8_INS9_ISB_lLm2ESD_lEENSG_ILm3ElEElLm3ESD_lEENS8_INS9_ISB_SC_Lm2ESD_lEESK_SC_Lm3ESD_lEEPKSC_l,"axG",@progbits,_ZN2at6native12_GLOBAL__N_135nll_loss2d_forward_no_reduce_kernelIN3c104HalfEEEvlN5torch10headeronly6detail27GenericPackedTensorAccessorINS7_14TensorAccessorINS3_8ArrayRefIlEET_Lm3ENS6_16DefaultPtrTraitsElEENS_6detail16IndexBoundsCheckILm4ElEESC_Lm4ESD_lEENS8_INS9_ISB_lLm2ESD_lEENSG_ILm3ElEElLm3ESD_lEENS8_INS9_ISB_SC_Lm2ESD_lEESK_SC_Lm3ESD_lEEPKSC_l,comdat
.Lfunc_end2:
	.size	_ZN2at6native12_GLOBAL__N_135nll_loss2d_forward_no_reduce_kernelIN3c104HalfEEEvlN5torch10headeronly6detail27GenericPackedTensorAccessorINS7_14TensorAccessorINS3_8ArrayRefIlEET_Lm3ENS6_16DefaultPtrTraitsElEENS_6detail16IndexBoundsCheckILm4ElEESC_Lm4ESD_lEENS8_INS9_ISB_lLm2ESD_lEENSG_ILm3ElEElLm3ESD_lEENS8_INS9_ISB_SC_Lm2ESD_lEESK_SC_Lm3ESD_lEEPKSC_l, .Lfunc_end2-_ZN2at6native12_GLOBAL__N_135nll_loss2d_forward_no_reduce_kernelIN3c104HalfEEEvlN5torch10headeronly6detail27GenericPackedTensorAccessorINS7_14TensorAccessorINS3_8ArrayRefIlEET_Lm3ENS6_16DefaultPtrTraitsElEENS_6detail16IndexBoundsCheckILm4ElEESC_Lm4ESD_lEENS8_INS9_ISB_lLm2ESD_lEENSG_ILm3ElEElLm3ESD_lEENS8_INS9_ISB_SC_Lm2ESD_lEESK_SC_Lm3ESD_lEEPKSC_l
                                        ; -- End function
	.section	.AMDGPU.csdata,"",@progbits
; Kernel info:
; codeLenInByte = 5408
; NumSgprs: 58
; NumVgprs: 26
; ScratchSize: 0
; MemoryBound: 0
; FloatMode: 240
; IeeeMode: 1
; LDSByteSize: 0 bytes/workgroup (compile time only)
; SGPRBlocks: 7
; VGPRBlocks: 3
; NumSGPRsForWavesPerEU: 58
; NumVGPRsForWavesPerEU: 26
; Occupancy: 16
; WaveLimiterHint : 1
; COMPUTE_PGM_RSRC2:SCRATCH_EN: 0
; COMPUTE_PGM_RSRC2:USER_SGPR: 15
; COMPUTE_PGM_RSRC2:TRAP_HANDLER: 0
; COMPUTE_PGM_RSRC2:TGID_X_EN: 1
; COMPUTE_PGM_RSRC2:TGID_Y_EN: 0
; COMPUTE_PGM_RSRC2:TGID_Z_EN: 0
; COMPUTE_PGM_RSRC2:TIDIG_COMP_CNT: 0
	.section	.text._ZN2at6native12_GLOBAL__N_135nll_loss2d_forward_no_reduce_kernelIN3c108BFloat16EEEvlN5torch10headeronly6detail27GenericPackedTensorAccessorINS7_14TensorAccessorINS3_8ArrayRefIlEET_Lm3ENS6_16DefaultPtrTraitsElEENS_6detail16IndexBoundsCheckILm4ElEESC_Lm4ESD_lEENS8_INS9_ISB_lLm2ESD_lEENSG_ILm3ElEElLm3ESD_lEENS8_INS9_ISB_SC_Lm2ESD_lEESK_SC_Lm3ESD_lEEPKSC_l,"axG",@progbits,_ZN2at6native12_GLOBAL__N_135nll_loss2d_forward_no_reduce_kernelIN3c108BFloat16EEEvlN5torch10headeronly6detail27GenericPackedTensorAccessorINS7_14TensorAccessorINS3_8ArrayRefIlEET_Lm3ENS6_16DefaultPtrTraitsElEENS_6detail16IndexBoundsCheckILm4ElEESC_Lm4ESD_lEENS8_INS9_ISB_lLm2ESD_lEENSG_ILm3ElEElLm3ESD_lEENS8_INS9_ISB_SC_Lm2ESD_lEESK_SC_Lm3ESD_lEEPKSC_l,comdat
	.globl	_ZN2at6native12_GLOBAL__N_135nll_loss2d_forward_no_reduce_kernelIN3c108BFloat16EEEvlN5torch10headeronly6detail27GenericPackedTensorAccessorINS7_14TensorAccessorINS3_8ArrayRefIlEET_Lm3ENS6_16DefaultPtrTraitsElEENS_6detail16IndexBoundsCheckILm4ElEESC_Lm4ESD_lEENS8_INS9_ISB_lLm2ESD_lEENSG_ILm3ElEElLm3ESD_lEENS8_INS9_ISB_SC_Lm2ESD_lEESK_SC_Lm3ESD_lEEPKSC_l ; -- Begin function _ZN2at6native12_GLOBAL__N_135nll_loss2d_forward_no_reduce_kernelIN3c108BFloat16EEEvlN5torch10headeronly6detail27GenericPackedTensorAccessorINS7_14TensorAccessorINS3_8ArrayRefIlEET_Lm3ENS6_16DefaultPtrTraitsElEENS_6detail16IndexBoundsCheckILm4ElEESC_Lm4ESD_lEENS8_INS9_ISB_lLm2ESD_lEENSG_ILm3ElEElLm3ESD_lEENS8_INS9_ISB_SC_Lm2ESD_lEESK_SC_Lm3ESD_lEEPKSC_l
	.p2align	8
	.type	_ZN2at6native12_GLOBAL__N_135nll_loss2d_forward_no_reduce_kernelIN3c108BFloat16EEEvlN5torch10headeronly6detail27GenericPackedTensorAccessorINS7_14TensorAccessorINS3_8ArrayRefIlEET_Lm3ENS6_16DefaultPtrTraitsElEENS_6detail16IndexBoundsCheckILm4ElEESC_Lm4ESD_lEENS8_INS9_ISB_lLm2ESD_lEENSG_ILm3ElEElLm3ESD_lEENS8_INS9_ISB_SC_Lm2ESD_lEESK_SC_Lm3ESD_lEEPKSC_l,@function
_ZN2at6native12_GLOBAL__N_135nll_loss2d_forward_no_reduce_kernelIN3c108BFloat16EEEvlN5torch10headeronly6detail27GenericPackedTensorAccessorINS7_14TensorAccessorINS3_8ArrayRefIlEET_Lm3ENS6_16DefaultPtrTraitsElEENS_6detail16IndexBoundsCheckILm4ElEESC_Lm4ESD_lEENS8_INS9_ISB_lLm2ESD_lEENSG_ILm3ElEElLm3ESD_lEENS8_INS9_ISB_SC_Lm2ESD_lEESK_SC_Lm3ESD_lEEPKSC_l: ; @_ZN2at6native12_GLOBAL__N_135nll_loss2d_forward_no_reduce_kernelIN3c108BFloat16EEEvlN5torch10headeronly6detail27GenericPackedTensorAccessorINS7_14TensorAccessorINS3_8ArrayRefIlEET_Lm3ENS6_16DefaultPtrTraitsElEENS_6detail16IndexBoundsCheckILm4ElEESC_Lm4ESD_lEENS8_INS9_ISB_lLm2ESD_lEENSG_ILm3ElEElLm3ESD_lEENS8_INS9_ISB_SC_Lm2ESD_lEESK_SC_Lm3ESD_lEEPKSC_l
; %bb.0:
	s_clause 0x1
	s_load_b32 s4, s[0:1], 0xdc
	s_load_b64 s[2:3], s[0:1], 0x0
	v_mov_b32_e32 v2, 0
	s_add_u32 s20, s0, 0xd0
	s_addc_u32 s21, s1, 0
	s_delay_alu instid0(VALU_DEP_1) | instskip(SKIP_3) | instid1(VALU_DEP_1)
	v_mov_b32_e32 v1, v2
	s_waitcnt lgkmcnt(0)
	s_and_b32 s44, s4, 0xffff
	s_mov_b32 s4, exec_lo
	v_mad_u64_u32 v[4:5], null, s44, s15, v[0:1]
	s_delay_alu instid0(VALU_DEP_1)
	v_cmpx_gt_i64_e64 s[2:3], v[4:5]
	s_cbranch_execz .LBB3_29
; %bb.1:
	s_clause 0x3
	s_load_b256 s[4:11], s[0:1], 0x10
	s_load_b128 s[28:31], s[0:1], 0xc0
	s_load_b64 s[34:35], s[0:1], 0x8
	s_load_b256 s[12:19], s[0:1], 0x30
	s_load_b32 s45, s[20:21], 0x0
	s_clause 0x3
	s_load_b64 s[40:41], s[0:1], 0x50
	s_load_b256 s[20:27], s[0:1], 0x70
	s_load_b64 s[42:43], s[0:1], 0xb8
	s_load_b128 s[36:39], s[0:1], 0xa8
	s_mov_b32 s49, 0
                                        ; implicit-def: $sgpr51
                                        ; implicit-def: $sgpr53
	s_waitcnt lgkmcnt(0)
	v_cvt_f32_u32_e32 v0, s4
	s_mul_i32 s0, s8, s5
	s_mul_hi_u32 s1, s8, s4
	s_mul_i32 s33, s9, s4
	s_add_i32 s0, s1, s0
	v_rcp_iflag_f32_e32 v0, v0
	v_mov_b32_e32 v3, v4
	s_add_i32 s1, s0, s33
	s_cmp_lg_u64 s[28:29], 0
	s_mul_i32 s50, s45, s44
	s_mul_i32 s33, s8, s4
	s_cselect_b32 s48, -1, 0
	s_mov_b32 s52, s50
	s_waitcnt_depctr 0xfff
	v_mul_f32_e32 v0, 0x4f7ffffe, v0
	s_delay_alu instid0(VALU_DEP_1)
	v_cvt_u32_f32_e32 v14, v0
	v_dual_mov_b32 v0, v2 :: v_dual_mov_b32 v1, v3
	s_branch .LBB3_3
.LBB3_2:                                ;   in Loop: Header=BB3_3 Depth=1
	s_or_b32 exec_lo, exec_lo, s45
	s_delay_alu instid0(SALU_CYCLE_1) | instskip(NEXT) | instid1(SALU_CYCLE_1)
	s_and_b32 s0, exec_lo, s44
	s_or_b32 s49, s0, s49
	s_and_not1_b32 s0, s51, exec_lo
	s_and_b32 s44, s53, exec_lo
	s_delay_alu instid0(SALU_CYCLE_1)
	s_or_b32 s51, s0, s44
	s_and_not1_b32 exec_lo, exec_lo, s49
	s_cbranch_execz .LBB3_28
.LBB3_3:                                ; =>This Inner Loop Header: Depth=1
	s_delay_alu instid0(VALU_DEP_1) | instskip(SKIP_2) | instid1(VALU_DEP_2)
	v_ashrrev_i32_e32 v15, 31, v1
	v_mov_b32_e32 v16, v1
                                        ; implicit-def: $vgpr6_vgpr7
	s_mov_b32 s0, exec_lo
	v_or_b32_e32 v3, s5, v15
	s_delay_alu instid0(VALU_DEP_1)
	v_cmpx_ne_u64_e32 0, v[2:3]
	s_xor_b32 s54, exec_lo, s0
	s_cbranch_execz .LBB3_5
; %bb.4:                                ;   in Loop: Header=BB3_3 Depth=1
	s_ashr_i32 s44, s5, 31
	s_delay_alu instid0(SALU_CYCLE_1) | instskip(SKIP_2) | instid1(SALU_CYCLE_1)
	s_add_u32 s46, s4, s44
	s_mov_b32 s45, s44
	s_addc_u32 s47, s5, s44
	s_xor_b64 s[46:47], s[46:47], s[44:45]
	s_delay_alu instid0(SALU_CYCLE_1) | instskip(SKIP_3) | instid1(VALU_DEP_1)
	v_cvt_f32_u32_e32 v3, s46
	v_cvt_f32_u32_e32 v6, s47
	s_sub_u32 s0, 0, s46
	s_subb_u32 s45, 0, s47
	v_fmac_f32_e32 v3, 0x4f800000, v6
	s_delay_alu instid0(VALU_DEP_1) | instskip(SKIP_2) | instid1(VALU_DEP_1)
	v_rcp_f32_e32 v3, v3
	s_waitcnt_depctr 0xfff
	v_mul_f32_e32 v3, 0x5f7ffffc, v3
	v_mul_f32_e32 v6, 0x2f800000, v3
	s_delay_alu instid0(VALU_DEP_1) | instskip(NEXT) | instid1(VALU_DEP_1)
	v_trunc_f32_e32 v6, v6
	v_fmac_f32_e32 v3, 0xcf800000, v6
	v_cvt_u32_f32_e32 v6, v6
	s_delay_alu instid0(VALU_DEP_2) | instskip(NEXT) | instid1(VALU_DEP_2)
	v_cvt_u32_f32_e32 v3, v3
	v_mul_lo_u32 v7, s0, v6
	s_delay_alu instid0(VALU_DEP_2) | instskip(SKIP_1) | instid1(VALU_DEP_2)
	v_mul_hi_u32 v8, s0, v3
	v_mul_lo_u32 v9, s45, v3
	v_add_nc_u32_e32 v7, v8, v7
	v_mul_lo_u32 v8, s0, v3
	s_delay_alu instid0(VALU_DEP_2) | instskip(NEXT) | instid1(VALU_DEP_2)
	v_add_nc_u32_e32 v7, v7, v9
	v_mul_hi_u32 v9, v3, v8
	s_delay_alu instid0(VALU_DEP_2)
	v_mul_lo_u32 v10, v3, v7
	v_mul_hi_u32 v11, v3, v7
	v_mul_hi_u32 v12, v6, v8
	v_mul_lo_u32 v8, v6, v8
	v_mul_hi_u32 v13, v6, v7
	v_mul_lo_u32 v7, v6, v7
	v_add_co_u32 v9, vcc_lo, v9, v10
	v_add_co_ci_u32_e32 v10, vcc_lo, 0, v11, vcc_lo
	s_delay_alu instid0(VALU_DEP_2) | instskip(NEXT) | instid1(VALU_DEP_2)
	v_add_co_u32 v8, vcc_lo, v9, v8
	v_add_co_ci_u32_e32 v8, vcc_lo, v10, v12, vcc_lo
	v_add_co_ci_u32_e32 v9, vcc_lo, 0, v13, vcc_lo
	v_ashrrev_i32_e32 v12, 31, v15
	s_delay_alu instid0(VALU_DEP_3) | instskip(NEXT) | instid1(VALU_DEP_3)
	v_add_co_u32 v7, vcc_lo, v8, v7
	v_add_co_ci_u32_e32 v8, vcc_lo, 0, v9, vcc_lo
	s_delay_alu instid0(VALU_DEP_2) | instskip(NEXT) | instid1(VALU_DEP_2)
	v_add_co_u32 v3, vcc_lo, v3, v7
	v_add_co_ci_u32_e32 v6, vcc_lo, v6, v8, vcc_lo
	s_delay_alu instid0(VALU_DEP_2) | instskip(SKIP_1) | instid1(VALU_DEP_3)
	v_mul_hi_u32 v7, s0, v3
	v_mul_lo_u32 v9, s45, v3
	v_mul_lo_u32 v8, s0, v6
	s_delay_alu instid0(VALU_DEP_1) | instskip(SKIP_1) | instid1(VALU_DEP_2)
	v_add_nc_u32_e32 v7, v7, v8
	v_mul_lo_u32 v8, s0, v3
	v_add_nc_u32_e32 v7, v7, v9
	s_delay_alu instid0(VALU_DEP_2) | instskip(NEXT) | instid1(VALU_DEP_2)
	v_mul_hi_u32 v9, v3, v8
	v_mul_lo_u32 v10, v3, v7
	v_mul_hi_u32 v11, v3, v7
	v_mul_hi_u32 v13, v6, v8
	v_mul_lo_u32 v8, v6, v8
	v_mul_hi_u32 v17, v6, v7
	v_mul_lo_u32 v7, v6, v7
	v_add_co_u32 v9, vcc_lo, v9, v10
	v_add_co_ci_u32_e32 v10, vcc_lo, 0, v11, vcc_lo
	s_delay_alu instid0(VALU_DEP_2) | instskip(NEXT) | instid1(VALU_DEP_2)
	v_add_co_u32 v8, vcc_lo, v9, v8
	v_add_co_ci_u32_e32 v8, vcc_lo, v10, v13, vcc_lo
	v_add_co_ci_u32_e32 v9, vcc_lo, 0, v17, vcc_lo
	v_add_co_u32 v10, vcc_lo, v16, v12
	v_add_co_ci_u32_e32 v11, vcc_lo, v15, v12, vcc_lo
	s_delay_alu instid0(VALU_DEP_4) | instskip(NEXT) | instid1(VALU_DEP_4)
	v_add_co_u32 v7, vcc_lo, v8, v7
	v_add_co_ci_u32_e32 v8, vcc_lo, 0, v9, vcc_lo
	s_delay_alu instid0(VALU_DEP_4) | instskip(NEXT) | instid1(VALU_DEP_3)
	v_xor_b32_e32 v13, v10, v12
	v_add_co_u32 v3, vcc_lo, v3, v7
	s_delay_alu instid0(VALU_DEP_3) | instskip(SKIP_1) | instid1(VALU_DEP_3)
	v_add_co_ci_u32_e32 v17, vcc_lo, v6, v8, vcc_lo
	v_xor_b32_e32 v18, v11, v12
	v_mul_hi_u32 v19, v13, v3
	s_delay_alu instid0(VALU_DEP_3) | instskip(NEXT) | instid1(VALU_DEP_3)
	v_mad_u64_u32 v[6:7], null, v13, v17, 0
	v_mad_u64_u32 v[8:9], null, v18, v3, 0
	v_mad_u64_u32 v[10:11], null, v18, v17, 0
	s_delay_alu instid0(VALU_DEP_3) | instskip(NEXT) | instid1(VALU_DEP_4)
	v_add_co_u32 v3, vcc_lo, v19, v6
	v_add_co_ci_u32_e32 v6, vcc_lo, 0, v7, vcc_lo
	s_delay_alu instid0(VALU_DEP_2) | instskip(NEXT) | instid1(VALU_DEP_2)
	v_add_co_u32 v3, vcc_lo, v3, v8
	v_add_co_ci_u32_e32 v3, vcc_lo, v6, v9, vcc_lo
	v_add_co_ci_u32_e32 v6, vcc_lo, 0, v11, vcc_lo
	s_delay_alu instid0(VALU_DEP_2) | instskip(NEXT) | instid1(VALU_DEP_2)
	v_add_co_u32 v3, vcc_lo, v3, v10
	v_add_co_ci_u32_e32 v8, vcc_lo, 0, v6, vcc_lo
	s_delay_alu instid0(VALU_DEP_2) | instskip(SKIP_1) | instid1(VALU_DEP_3)
	v_mul_lo_u32 v9, s47, v3
	v_mad_u64_u32 v[6:7], null, s46, v3, 0
	v_mul_lo_u32 v10, s46, v8
	s_delay_alu instid0(VALU_DEP_2) | instskip(NEXT) | instid1(VALU_DEP_2)
	v_sub_co_u32 v6, vcc_lo, v13, v6
	v_add3_u32 v7, v7, v10, v9
	s_delay_alu instid0(VALU_DEP_1) | instskip(NEXT) | instid1(VALU_DEP_1)
	v_sub_nc_u32_e32 v9, v18, v7
	v_subrev_co_ci_u32_e64 v9, s0, s47, v9, vcc_lo
	v_add_co_u32 v10, s0, v3, 2
	s_delay_alu instid0(VALU_DEP_1) | instskip(SKIP_3) | instid1(VALU_DEP_3)
	v_add_co_ci_u32_e64 v11, s0, 0, v8, s0
	v_sub_co_u32 v13, s0, v6, s46
	v_sub_co_ci_u32_e32 v7, vcc_lo, v18, v7, vcc_lo
	v_subrev_co_ci_u32_e64 v9, s0, 0, v9, s0
	v_cmp_le_u32_e32 vcc_lo, s46, v13
	s_delay_alu instid0(VALU_DEP_3) | instskip(SKIP_1) | instid1(VALU_DEP_4)
	v_cmp_eq_u32_e64 s0, s47, v7
	v_cndmask_b32_e64 v13, 0, -1, vcc_lo
	v_cmp_le_u32_e32 vcc_lo, s47, v9
	v_cndmask_b32_e64 v17, 0, -1, vcc_lo
	v_cmp_le_u32_e32 vcc_lo, s46, v6
	;; [unrolled: 2-line block ×3, first 2 shown]
	v_cndmask_b32_e64 v18, 0, -1, vcc_lo
	v_cmp_eq_u32_e32 vcc_lo, s47, v9
	s_delay_alu instid0(VALU_DEP_2) | instskip(SKIP_3) | instid1(VALU_DEP_3)
	v_cndmask_b32_e64 v6, v18, v6, s0
	v_cndmask_b32_e32 v9, v17, v13, vcc_lo
	v_add_co_u32 v13, vcc_lo, v3, 1
	v_add_co_ci_u32_e32 v17, vcc_lo, 0, v8, vcc_lo
	v_cmp_ne_u32_e32 vcc_lo, 0, v9
	s_delay_alu instid0(VALU_DEP_2) | instskip(NEXT) | instid1(VALU_DEP_4)
	v_cndmask_b32_e32 v7, v17, v11, vcc_lo
	v_cndmask_b32_e32 v9, v13, v10, vcc_lo
	v_cmp_ne_u32_e32 vcc_lo, 0, v6
	v_xor_b32_e32 v10, s44, v12
	s_delay_alu instid0(VALU_DEP_3) | instskip(NEXT) | instid1(VALU_DEP_1)
	v_dual_cndmask_b32 v3, v3, v9 :: v_dual_cndmask_b32 v6, v8, v7
	v_xor_b32_e32 v3, v3, v10
	s_delay_alu instid0(VALU_DEP_2) | instskip(NEXT) | instid1(VALU_DEP_2)
	v_xor_b32_e32 v7, v6, v10
	v_sub_co_u32 v6, vcc_lo, v3, v10
	s_delay_alu instid0(VALU_DEP_2)
	v_sub_co_ci_u32_e32 v7, vcc_lo, v7, v10, vcc_lo
.LBB3_5:                                ;   in Loop: Header=BB3_3 Depth=1
	s_and_not1_saveexec_b32 s0, s54
	s_cbranch_execz .LBB3_7
; %bb.6:                                ;   in Loop: Header=BB3_3 Depth=1
	s_sub_i32 s44, 0, s4
	s_delay_alu instid0(SALU_CYCLE_1) | instskip(NEXT) | instid1(VALU_DEP_1)
	v_mul_lo_u32 v3, s44, v14
	v_mul_hi_u32 v3, v14, v3
	s_delay_alu instid0(VALU_DEP_1) | instskip(NEXT) | instid1(VALU_DEP_1)
	v_add_nc_u32_e32 v3, v14, v3
	v_mul_hi_u32 v3, v16, v3
	s_delay_alu instid0(VALU_DEP_1) | instskip(NEXT) | instid1(VALU_DEP_1)
	v_mul_lo_u32 v6, v3, s4
	v_sub_nc_u32_e32 v6, v16, v6
	s_delay_alu instid0(VALU_DEP_1) | instskip(SKIP_1) | instid1(VALU_DEP_2)
	v_subrev_nc_u32_e32 v8, s4, v6
	v_cmp_le_u32_e32 vcc_lo, s4, v6
	v_dual_cndmask_b32 v6, v6, v8 :: v_dual_add_nc_u32 v7, 1, v3
	s_delay_alu instid0(VALU_DEP_1) | instskip(NEXT) | instid1(VALU_DEP_2)
	v_cndmask_b32_e32 v3, v3, v7, vcc_lo
	v_cmp_le_u32_e32 vcc_lo, s4, v6
	s_delay_alu instid0(VALU_DEP_2) | instskip(NEXT) | instid1(VALU_DEP_1)
	v_add_nc_u32_e32 v7, 1, v3
	v_dual_cndmask_b32 v6, v3, v7 :: v_dual_mov_b32 v7, v2
.LBB3_7:                                ;   in Loop: Header=BB3_3 Depth=1
	s_or_b32 exec_lo, exec_lo, s0
	s_delay_alu instid0(VALU_DEP_1) | instskip(SKIP_1) | instid1(VALU_DEP_1)
	v_or_b32_e32 v3, s9, v7
                                        ; implicit-def: $vgpr8_vgpr9
	s_mov_b32 s0, exec_lo
	v_cmpx_ne_u64_e32 0, v[2:3]
	s_xor_b32 s46, exec_lo, s0
	s_cbranch_execz .LBB3_9
; %bb.8:                                ;   in Loop: Header=BB3_3 Depth=1
	s_ashr_i32 s44, s9, 31
	s_delay_alu instid0(SALU_CYCLE_1) | instskip(SKIP_2) | instid1(SALU_CYCLE_1)
	s_add_u32 s54, s8, s44
	s_mov_b32 s45, s44
	s_addc_u32 s55, s9, s44
	s_xor_b64 s[44:45], s[54:55], s[44:45]
	s_delay_alu instid0(SALU_CYCLE_1) | instskip(SKIP_3) | instid1(VALU_DEP_1)
	v_cvt_f32_u32_e32 v3, s44
	v_cvt_f32_u32_e32 v8, s45
	s_sub_u32 s0, 0, s44
	s_subb_u32 s47, 0, s45
	v_fmac_f32_e32 v3, 0x4f800000, v8
	s_delay_alu instid0(VALU_DEP_1) | instskip(SKIP_2) | instid1(VALU_DEP_1)
	v_rcp_f32_e32 v3, v3
	s_waitcnt_depctr 0xfff
	v_mul_f32_e32 v3, 0x5f7ffffc, v3
	v_mul_f32_e32 v8, 0x2f800000, v3
	s_delay_alu instid0(VALU_DEP_1) | instskip(NEXT) | instid1(VALU_DEP_1)
	v_trunc_f32_e32 v8, v8
	v_fmac_f32_e32 v3, 0xcf800000, v8
	v_cvt_u32_f32_e32 v8, v8
	s_delay_alu instid0(VALU_DEP_2) | instskip(NEXT) | instid1(VALU_DEP_2)
	v_cvt_u32_f32_e32 v3, v3
	v_mul_lo_u32 v9, s0, v8
	s_delay_alu instid0(VALU_DEP_2) | instskip(SKIP_1) | instid1(VALU_DEP_2)
	v_mul_hi_u32 v10, s0, v3
	v_mul_lo_u32 v11, s47, v3
	v_add_nc_u32_e32 v9, v10, v9
	v_mul_lo_u32 v10, s0, v3
	s_delay_alu instid0(VALU_DEP_2) | instskip(NEXT) | instid1(VALU_DEP_2)
	v_add_nc_u32_e32 v9, v9, v11
	v_mul_hi_u32 v11, v3, v10
	s_delay_alu instid0(VALU_DEP_2)
	v_mul_lo_u32 v12, v3, v9
	v_mul_hi_u32 v13, v3, v9
	v_mul_hi_u32 v17, v8, v10
	v_mul_lo_u32 v10, v8, v10
	v_mul_hi_u32 v18, v8, v9
	v_mul_lo_u32 v9, v8, v9
	v_add_co_u32 v11, vcc_lo, v11, v12
	v_add_co_ci_u32_e32 v12, vcc_lo, 0, v13, vcc_lo
	s_delay_alu instid0(VALU_DEP_2) | instskip(NEXT) | instid1(VALU_DEP_2)
	v_add_co_u32 v10, vcc_lo, v11, v10
	v_add_co_ci_u32_e32 v10, vcc_lo, v12, v17, vcc_lo
	v_add_co_ci_u32_e32 v11, vcc_lo, 0, v18, vcc_lo
	v_ashrrev_i32_e32 v17, 31, v7
	s_delay_alu instid0(VALU_DEP_3) | instskip(NEXT) | instid1(VALU_DEP_3)
	v_add_co_u32 v9, vcc_lo, v10, v9
	v_add_co_ci_u32_e32 v10, vcc_lo, 0, v11, vcc_lo
	s_delay_alu instid0(VALU_DEP_2) | instskip(NEXT) | instid1(VALU_DEP_2)
	v_add_co_u32 v3, vcc_lo, v3, v9
	v_add_co_ci_u32_e32 v8, vcc_lo, v8, v10, vcc_lo
	s_delay_alu instid0(VALU_DEP_2) | instskip(SKIP_1) | instid1(VALU_DEP_3)
	v_mul_hi_u32 v9, s0, v3
	v_mul_lo_u32 v11, s47, v3
	v_mul_lo_u32 v10, s0, v8
	s_delay_alu instid0(VALU_DEP_1) | instskip(SKIP_1) | instid1(VALU_DEP_2)
	v_add_nc_u32_e32 v9, v9, v10
	v_mul_lo_u32 v10, s0, v3
	v_add_nc_u32_e32 v9, v9, v11
	s_delay_alu instid0(VALU_DEP_2) | instskip(NEXT) | instid1(VALU_DEP_2)
	v_mul_hi_u32 v11, v3, v10
	v_mul_lo_u32 v12, v3, v9
	v_mul_hi_u32 v13, v3, v9
	v_mul_hi_u32 v18, v8, v10
	v_mul_lo_u32 v10, v8, v10
	v_mul_hi_u32 v19, v8, v9
	v_mul_lo_u32 v9, v8, v9
	v_add_co_u32 v11, vcc_lo, v11, v12
	v_add_co_ci_u32_e32 v12, vcc_lo, 0, v13, vcc_lo
	s_delay_alu instid0(VALU_DEP_2) | instskip(NEXT) | instid1(VALU_DEP_2)
	v_add_co_u32 v10, vcc_lo, v11, v10
	v_add_co_ci_u32_e32 v10, vcc_lo, v12, v18, vcc_lo
	v_add_co_ci_u32_e32 v11, vcc_lo, 0, v19, vcc_lo
	v_add_co_u32 v12, vcc_lo, v6, v17
	v_add_co_ci_u32_e32 v13, vcc_lo, v7, v17, vcc_lo
	s_delay_alu instid0(VALU_DEP_4) | instskip(NEXT) | instid1(VALU_DEP_4)
	v_add_co_u32 v9, vcc_lo, v10, v9
	v_add_co_ci_u32_e32 v10, vcc_lo, 0, v11, vcc_lo
	s_delay_alu instid0(VALU_DEP_4) | instskip(NEXT) | instid1(VALU_DEP_3)
	v_xor_b32_e32 v18, v12, v17
	v_add_co_u32 v3, vcc_lo, v3, v9
	s_delay_alu instid0(VALU_DEP_3) | instskip(SKIP_1) | instid1(VALU_DEP_3)
	v_add_co_ci_u32_e32 v19, vcc_lo, v8, v10, vcc_lo
	v_xor_b32_e32 v20, v13, v17
	v_mul_hi_u32 v21, v18, v3
	s_delay_alu instid0(VALU_DEP_3) | instskip(NEXT) | instid1(VALU_DEP_3)
	v_mad_u64_u32 v[8:9], null, v18, v19, 0
	v_mad_u64_u32 v[10:11], null, v20, v3, 0
	;; [unrolled: 1-line block ×3, first 2 shown]
	s_delay_alu instid0(VALU_DEP_3) | instskip(NEXT) | instid1(VALU_DEP_4)
	v_add_co_u32 v3, vcc_lo, v21, v8
	v_add_co_ci_u32_e32 v8, vcc_lo, 0, v9, vcc_lo
	s_delay_alu instid0(VALU_DEP_2) | instskip(NEXT) | instid1(VALU_DEP_2)
	v_add_co_u32 v3, vcc_lo, v3, v10
	v_add_co_ci_u32_e32 v3, vcc_lo, v8, v11, vcc_lo
	v_add_co_ci_u32_e32 v8, vcc_lo, 0, v13, vcc_lo
	s_delay_alu instid0(VALU_DEP_2) | instskip(NEXT) | instid1(VALU_DEP_2)
	v_add_co_u32 v3, vcc_lo, v3, v12
	v_add_co_ci_u32_e32 v10, vcc_lo, 0, v8, vcc_lo
	s_delay_alu instid0(VALU_DEP_2) | instskip(SKIP_1) | instid1(VALU_DEP_3)
	v_mul_lo_u32 v11, s45, v3
	v_mad_u64_u32 v[8:9], null, s44, v3, 0
	v_mul_lo_u32 v3, s44, v10
	s_delay_alu instid0(VALU_DEP_2) | instskip(NEXT) | instid1(VALU_DEP_2)
	v_sub_co_u32 v8, vcc_lo, v18, v8
	v_add3_u32 v3, v9, v3, v11
	s_delay_alu instid0(VALU_DEP_1) | instskip(NEXT) | instid1(VALU_DEP_1)
	v_sub_nc_u32_e32 v9, v20, v3
	v_subrev_co_ci_u32_e64 v9, s0, s45, v9, vcc_lo
	v_sub_co_ci_u32_e32 v3, vcc_lo, v20, v3, vcc_lo
	v_sub_co_u32 v10, vcc_lo, v8, s44
	s_delay_alu instid0(VALU_DEP_1) | instskip(SKIP_3) | instid1(VALU_DEP_3)
	v_subrev_co_ci_u32_e64 v11, s0, 0, v9, vcc_lo
	v_cmp_le_u32_e64 s0, s44, v8
	v_subrev_co_ci_u32_e32 v9, vcc_lo, s45, v9, vcc_lo
	v_cmp_le_u32_e32 vcc_lo, s45, v3
	v_cndmask_b32_e64 v12, 0, -1, s0
	v_cmp_le_u32_e64 s0, s44, v10
	v_cndmask_b32_e64 v19, 0, -1, vcc_lo
	v_cmp_eq_u32_e32 vcc_lo, s45, v11
	s_delay_alu instid0(VALU_DEP_3) | instskip(SKIP_1) | instid1(VALU_DEP_1)
	v_cndmask_b32_e64 v13, 0, -1, s0
	v_cmp_le_u32_e64 s0, s45, v11
	v_cndmask_b32_e64 v18, 0, -1, s0
	v_cmp_eq_u32_e64 s0, s45, v3
	s_delay_alu instid0(VALU_DEP_2) | instskip(SKIP_2) | instid1(VALU_DEP_3)
	v_cndmask_b32_e32 v13, v18, v13, vcc_lo
	v_sub_co_u32 v18, vcc_lo, v10, s44
	v_subrev_co_ci_u32_e32 v9, vcc_lo, 0, v9, vcc_lo
	v_cmp_ne_u32_e32 vcc_lo, 0, v13
	v_cndmask_b32_e64 v12, v19, v12, s0
	s_delay_alu instid0(VALU_DEP_3) | instskip(NEXT) | instid1(VALU_DEP_2)
	v_dual_cndmask_b32 v9, v11, v9 :: v_dual_cndmask_b32 v10, v10, v18
	v_cmp_ne_u32_e32 vcc_lo, 0, v12
	s_delay_alu instid0(VALU_DEP_2) | instskip(NEXT) | instid1(VALU_DEP_1)
	v_dual_cndmask_b32 v8, v8, v10 :: v_dual_cndmask_b32 v3, v3, v9
	v_xor_b32_e32 v8, v8, v17
	s_delay_alu instid0(VALU_DEP_2) | instskip(NEXT) | instid1(VALU_DEP_2)
	v_xor_b32_e32 v3, v3, v17
	v_sub_co_u32 v8, vcc_lo, v8, v17
	s_delay_alu instid0(VALU_DEP_2)
	v_sub_co_ci_u32_e32 v9, vcc_lo, v3, v17, vcc_lo
.LBB3_9:                                ;   in Loop: Header=BB3_3 Depth=1
	s_and_not1_saveexec_b32 s0, s46
	s_cbranch_execz .LBB3_11
; %bb.10:                               ;   in Loop: Header=BB3_3 Depth=1
	v_cvt_f32_u32_e32 v3, s8
	s_sub_i32 s44, 0, s8
	v_mov_b32_e32 v9, v2
	s_delay_alu instid0(VALU_DEP_2) | instskip(SKIP_2) | instid1(VALU_DEP_1)
	v_rcp_iflag_f32_e32 v3, v3
	s_waitcnt_depctr 0xfff
	v_mul_f32_e32 v3, 0x4f7ffffe, v3
	v_cvt_u32_f32_e32 v3, v3
	s_delay_alu instid0(VALU_DEP_1) | instskip(NEXT) | instid1(VALU_DEP_1)
	v_mul_lo_u32 v8, s44, v3
	v_mul_hi_u32 v8, v3, v8
	s_delay_alu instid0(VALU_DEP_1) | instskip(NEXT) | instid1(VALU_DEP_1)
	v_add_nc_u32_e32 v3, v3, v8
	v_mul_hi_u32 v3, v6, v3
	s_delay_alu instid0(VALU_DEP_1) | instskip(NEXT) | instid1(VALU_DEP_1)
	v_mul_lo_u32 v3, v3, s8
	v_sub_nc_u32_e32 v3, v6, v3
	s_delay_alu instid0(VALU_DEP_1) | instskip(SKIP_1) | instid1(VALU_DEP_2)
	v_subrev_nc_u32_e32 v8, s8, v3
	v_cmp_le_u32_e32 vcc_lo, s8, v3
	v_cndmask_b32_e32 v3, v3, v8, vcc_lo
	s_delay_alu instid0(VALU_DEP_1) | instskip(SKIP_1) | instid1(VALU_DEP_2)
	v_subrev_nc_u32_e32 v8, s8, v3
	v_cmp_le_u32_e32 vcc_lo, s8, v3
	v_cndmask_b32_e32 v8, v3, v8, vcc_lo
.LBB3_11:                               ;   in Loop: Header=BB3_3 Depth=1
	s_or_b32 exec_lo, exec_lo, s0
	v_or_b32_e32 v3, s1, v15
                                        ; implicit-def: $vgpr12_vgpr13
	s_mov_b32 s0, exec_lo
	s_delay_alu instid0(VALU_DEP_1)
	v_cmpx_ne_u64_e32 0, v[2:3]
	s_xor_b32 s54, exec_lo, s0
	s_cbranch_execz .LBB3_13
; %bb.12:                               ;   in Loop: Header=BB3_3 Depth=1
	s_ashr_i32 s44, s1, 31
	s_delay_alu instid0(SALU_CYCLE_1) | instskip(SKIP_2) | instid1(SALU_CYCLE_1)
	s_add_u32 s46, s33, s44
	s_mov_b32 s45, s44
	s_addc_u32 s47, s1, s44
	s_xor_b64 s[46:47], s[46:47], s[44:45]
	s_delay_alu instid0(SALU_CYCLE_1) | instskip(SKIP_3) | instid1(VALU_DEP_1)
	v_cvt_f32_u32_e32 v3, s46
	v_cvt_f32_u32_e32 v10, s47
	s_sub_u32 s0, 0, s46
	s_subb_u32 s45, 0, s47
	v_fmac_f32_e32 v3, 0x4f800000, v10
	s_delay_alu instid0(VALU_DEP_1) | instskip(SKIP_2) | instid1(VALU_DEP_1)
	v_rcp_f32_e32 v3, v3
	s_waitcnt_depctr 0xfff
	v_mul_f32_e32 v3, 0x5f7ffffc, v3
	v_mul_f32_e32 v10, 0x2f800000, v3
	s_delay_alu instid0(VALU_DEP_1) | instskip(NEXT) | instid1(VALU_DEP_1)
	v_trunc_f32_e32 v10, v10
	v_fmac_f32_e32 v3, 0xcf800000, v10
	v_cvt_u32_f32_e32 v10, v10
	s_delay_alu instid0(VALU_DEP_2) | instskip(NEXT) | instid1(VALU_DEP_2)
	v_cvt_u32_f32_e32 v3, v3
	v_mul_lo_u32 v11, s0, v10
	s_delay_alu instid0(VALU_DEP_2) | instskip(SKIP_1) | instid1(VALU_DEP_2)
	v_mul_hi_u32 v12, s0, v3
	v_mul_lo_u32 v13, s45, v3
	v_add_nc_u32_e32 v11, v12, v11
	v_mul_lo_u32 v12, s0, v3
	s_delay_alu instid0(VALU_DEP_2) | instskip(NEXT) | instid1(VALU_DEP_2)
	v_add_nc_u32_e32 v11, v11, v13
	v_mul_hi_u32 v13, v3, v12
	s_delay_alu instid0(VALU_DEP_2)
	v_mul_lo_u32 v17, v3, v11
	v_mul_hi_u32 v18, v3, v11
	v_mul_hi_u32 v19, v10, v12
	v_mul_lo_u32 v12, v10, v12
	v_mul_hi_u32 v20, v10, v11
	v_mul_lo_u32 v11, v10, v11
	v_add_co_u32 v13, vcc_lo, v13, v17
	v_add_co_ci_u32_e32 v17, vcc_lo, 0, v18, vcc_lo
	s_delay_alu instid0(VALU_DEP_2) | instskip(NEXT) | instid1(VALU_DEP_2)
	v_add_co_u32 v12, vcc_lo, v13, v12
	v_add_co_ci_u32_e32 v12, vcc_lo, v17, v19, vcc_lo
	v_add_co_ci_u32_e32 v13, vcc_lo, 0, v20, vcc_lo
	v_ashrrev_i32_e32 v19, 31, v15
	s_delay_alu instid0(VALU_DEP_3) | instskip(NEXT) | instid1(VALU_DEP_3)
	v_add_co_u32 v11, vcc_lo, v12, v11
	v_add_co_ci_u32_e32 v12, vcc_lo, 0, v13, vcc_lo
	s_delay_alu instid0(VALU_DEP_2) | instskip(NEXT) | instid1(VALU_DEP_2)
	v_add_co_u32 v3, vcc_lo, v3, v11
	v_add_co_ci_u32_e32 v10, vcc_lo, v10, v12, vcc_lo
	s_delay_alu instid0(VALU_DEP_2) | instskip(SKIP_1) | instid1(VALU_DEP_3)
	v_mul_hi_u32 v11, s0, v3
	v_mul_lo_u32 v13, s45, v3
	v_mul_lo_u32 v12, s0, v10
	s_delay_alu instid0(VALU_DEP_1) | instskip(SKIP_1) | instid1(VALU_DEP_2)
	v_add_nc_u32_e32 v11, v11, v12
	v_mul_lo_u32 v12, s0, v3
	v_add_nc_u32_e32 v11, v11, v13
	s_delay_alu instid0(VALU_DEP_2) | instskip(NEXT) | instid1(VALU_DEP_2)
	v_mul_hi_u32 v13, v3, v12
	v_mul_lo_u32 v17, v3, v11
	v_mul_hi_u32 v18, v3, v11
	v_mul_hi_u32 v20, v10, v12
	v_mul_lo_u32 v12, v10, v12
	v_mul_hi_u32 v21, v10, v11
	v_mul_lo_u32 v11, v10, v11
	v_add_co_u32 v13, vcc_lo, v13, v17
	v_add_co_ci_u32_e32 v17, vcc_lo, 0, v18, vcc_lo
	s_delay_alu instid0(VALU_DEP_2) | instskip(NEXT) | instid1(VALU_DEP_2)
	v_add_co_u32 v12, vcc_lo, v13, v12
	v_add_co_ci_u32_e32 v12, vcc_lo, v17, v20, vcc_lo
	v_add_co_ci_u32_e32 v13, vcc_lo, 0, v21, vcc_lo
	v_add_co_u32 v17, vcc_lo, v16, v19
	v_add_co_ci_u32_e32 v18, vcc_lo, v15, v19, vcc_lo
	s_delay_alu instid0(VALU_DEP_4) | instskip(NEXT) | instid1(VALU_DEP_4)
	v_add_co_u32 v11, vcc_lo, v12, v11
	v_add_co_ci_u32_e32 v12, vcc_lo, 0, v13, vcc_lo
	s_delay_alu instid0(VALU_DEP_4) | instskip(NEXT) | instid1(VALU_DEP_3)
	v_xor_b32_e32 v20, v17, v19
	v_add_co_u32 v3, vcc_lo, v3, v11
	s_delay_alu instid0(VALU_DEP_3) | instskip(SKIP_1) | instid1(VALU_DEP_3)
	v_add_co_ci_u32_e32 v21, vcc_lo, v10, v12, vcc_lo
	v_xor_b32_e32 v22, v18, v19
	v_mul_hi_u32 v23, v20, v3
	s_delay_alu instid0(VALU_DEP_3) | instskip(NEXT) | instid1(VALU_DEP_3)
	v_mad_u64_u32 v[10:11], null, v20, v21, 0
	v_mad_u64_u32 v[12:13], null, v22, v3, 0
	;; [unrolled: 1-line block ×3, first 2 shown]
	s_delay_alu instid0(VALU_DEP_3) | instskip(NEXT) | instid1(VALU_DEP_4)
	v_add_co_u32 v3, vcc_lo, v23, v10
	v_add_co_ci_u32_e32 v10, vcc_lo, 0, v11, vcc_lo
	s_delay_alu instid0(VALU_DEP_2) | instskip(NEXT) | instid1(VALU_DEP_2)
	v_add_co_u32 v3, vcc_lo, v3, v12
	v_add_co_ci_u32_e32 v3, vcc_lo, v10, v13, vcc_lo
	v_add_co_ci_u32_e32 v10, vcc_lo, 0, v18, vcc_lo
	s_delay_alu instid0(VALU_DEP_2) | instskip(NEXT) | instid1(VALU_DEP_2)
	v_add_co_u32 v3, vcc_lo, v3, v17
	v_add_co_ci_u32_e32 v12, vcc_lo, 0, v10, vcc_lo
	s_delay_alu instid0(VALU_DEP_2) | instskip(SKIP_1) | instid1(VALU_DEP_3)
	v_mul_lo_u32 v13, s47, v3
	v_mad_u64_u32 v[10:11], null, s46, v3, 0
	v_mul_lo_u32 v17, s46, v12
	s_delay_alu instid0(VALU_DEP_2) | instskip(NEXT) | instid1(VALU_DEP_2)
	v_sub_co_u32 v10, vcc_lo, v20, v10
	v_add3_u32 v11, v11, v17, v13
	s_delay_alu instid0(VALU_DEP_1) | instskip(NEXT) | instid1(VALU_DEP_1)
	v_sub_nc_u32_e32 v13, v22, v11
	v_subrev_co_ci_u32_e64 v13, s0, s47, v13, vcc_lo
	v_add_co_u32 v17, s0, v3, 2
	s_delay_alu instid0(VALU_DEP_1) | instskip(SKIP_3) | instid1(VALU_DEP_3)
	v_add_co_ci_u32_e64 v18, s0, 0, v12, s0
	v_sub_co_u32 v20, s0, v10, s46
	v_sub_co_ci_u32_e32 v11, vcc_lo, v22, v11, vcc_lo
	v_subrev_co_ci_u32_e64 v13, s0, 0, v13, s0
	v_cmp_le_u32_e32 vcc_lo, s46, v20
	s_delay_alu instid0(VALU_DEP_3) | instskip(SKIP_1) | instid1(VALU_DEP_4)
	v_cmp_eq_u32_e64 s0, s47, v11
	v_cndmask_b32_e64 v20, 0, -1, vcc_lo
	v_cmp_le_u32_e32 vcc_lo, s47, v13
	v_cndmask_b32_e64 v21, 0, -1, vcc_lo
	v_cmp_le_u32_e32 vcc_lo, s46, v10
	;; [unrolled: 2-line block ×3, first 2 shown]
	v_cndmask_b32_e64 v22, 0, -1, vcc_lo
	v_cmp_eq_u32_e32 vcc_lo, s47, v13
	s_delay_alu instid0(VALU_DEP_2) | instskip(SKIP_3) | instid1(VALU_DEP_3)
	v_cndmask_b32_e64 v10, v22, v10, s0
	v_cndmask_b32_e32 v13, v21, v20, vcc_lo
	v_add_co_u32 v20, vcc_lo, v3, 1
	v_add_co_ci_u32_e32 v21, vcc_lo, 0, v12, vcc_lo
	v_cmp_ne_u32_e32 vcc_lo, 0, v13
	s_delay_alu instid0(VALU_DEP_2) | instskip(NEXT) | instid1(VALU_DEP_4)
	v_cndmask_b32_e32 v11, v21, v18, vcc_lo
	v_cndmask_b32_e32 v13, v20, v17, vcc_lo
	v_cmp_ne_u32_e32 vcc_lo, 0, v10
	v_xor_b32_e32 v10, s44, v19
	s_delay_alu instid0(VALU_DEP_3) | instskip(SKIP_1) | instid1(VALU_DEP_2)
	v_cndmask_b32_e32 v3, v3, v13, vcc_lo
	v_cndmask_b32_e32 v11, v12, v11, vcc_lo
	v_xor_b32_e32 v3, v3, v10
	s_delay_alu instid0(VALU_DEP_2) | instskip(NEXT) | instid1(VALU_DEP_2)
	v_xor_b32_e32 v11, v11, v10
	v_sub_co_u32 v12, vcc_lo, v3, v10
	s_delay_alu instid0(VALU_DEP_2)
	v_sub_co_ci_u32_e32 v13, vcc_lo, v11, v10, vcc_lo
.LBB3_13:                               ;   in Loop: Header=BB3_3 Depth=1
	s_and_not1_saveexec_b32 s0, s54
	s_cbranch_execz .LBB3_15
; %bb.14:                               ;   in Loop: Header=BB3_3 Depth=1
	v_cvt_f32_u32_e32 v3, s33
	s_sub_i32 s44, 0, s33
	v_mov_b32_e32 v13, v2
	s_delay_alu instid0(VALU_DEP_2) | instskip(SKIP_2) | instid1(VALU_DEP_1)
	v_rcp_iflag_f32_e32 v3, v3
	s_waitcnt_depctr 0xfff
	v_mul_f32_e32 v3, 0x4f7ffffe, v3
	v_cvt_u32_f32_e32 v3, v3
	s_delay_alu instid0(VALU_DEP_1) | instskip(NEXT) | instid1(VALU_DEP_1)
	v_mul_lo_u32 v10, s44, v3
	v_mul_hi_u32 v10, v3, v10
	s_delay_alu instid0(VALU_DEP_1) | instskip(NEXT) | instid1(VALU_DEP_1)
	v_add_nc_u32_e32 v3, v3, v10
	v_mul_hi_u32 v3, v1, v3
	s_delay_alu instid0(VALU_DEP_1) | instskip(SKIP_1) | instid1(VALU_DEP_2)
	v_mul_lo_u32 v10, v3, s33
	v_add_nc_u32_e32 v11, 1, v3
	v_sub_nc_u32_e32 v10, v1, v10
	s_delay_alu instid0(VALU_DEP_1) | instskip(SKIP_1) | instid1(VALU_DEP_2)
	v_subrev_nc_u32_e32 v12, s33, v10
	v_cmp_le_u32_e32 vcc_lo, s33, v10
	v_dual_cndmask_b32 v10, v10, v12 :: v_dual_cndmask_b32 v3, v3, v11
	s_delay_alu instid0(VALU_DEP_1) | instskip(NEXT) | instid1(VALU_DEP_2)
	v_cmp_le_u32_e32 vcc_lo, s33, v10
	v_add_nc_u32_e32 v11, 1, v3
	s_delay_alu instid0(VALU_DEP_1)
	v_cndmask_b32_e32 v12, v3, v11, vcc_lo
.LBB3_15:                               ;   in Loop: Header=BB3_3 Depth=1
	s_or_b32 exec_lo, exec_lo, s0
	s_delay_alu instid0(VALU_DEP_1) | instskip(SKIP_1) | instid1(VALU_DEP_1)
	v_or_b32_e32 v3, s11, v13
                                        ; implicit-def: $vgpr10_vgpr11
	s_mov_b32 s0, exec_lo
	v_cmpx_ne_u64_e32 0, v[2:3]
	s_xor_b32 s46, exec_lo, s0
	s_cbranch_execz .LBB3_17
; %bb.16:                               ;   in Loop: Header=BB3_3 Depth=1
	s_ashr_i32 s44, s11, 31
	s_delay_alu instid0(SALU_CYCLE_1) | instskip(SKIP_2) | instid1(SALU_CYCLE_1)
	s_add_u32 s54, s10, s44
	s_mov_b32 s45, s44
	s_addc_u32 s55, s11, s44
	s_xor_b64 s[44:45], s[54:55], s[44:45]
	s_delay_alu instid0(SALU_CYCLE_1) | instskip(SKIP_3) | instid1(VALU_DEP_1)
	v_cvt_f32_u32_e32 v3, s44
	v_cvt_f32_u32_e32 v10, s45
	s_sub_u32 s0, 0, s44
	s_subb_u32 s47, 0, s45
	v_fmac_f32_e32 v3, 0x4f800000, v10
	s_delay_alu instid0(VALU_DEP_1) | instskip(SKIP_2) | instid1(VALU_DEP_1)
	v_rcp_f32_e32 v3, v3
	s_waitcnt_depctr 0xfff
	v_mul_f32_e32 v3, 0x5f7ffffc, v3
	v_mul_f32_e32 v10, 0x2f800000, v3
	s_delay_alu instid0(VALU_DEP_1) | instskip(NEXT) | instid1(VALU_DEP_1)
	v_trunc_f32_e32 v10, v10
	v_fmac_f32_e32 v3, 0xcf800000, v10
	v_cvt_u32_f32_e32 v10, v10
	s_delay_alu instid0(VALU_DEP_2) | instskip(NEXT) | instid1(VALU_DEP_2)
	v_cvt_u32_f32_e32 v3, v3
	v_mul_lo_u32 v11, s0, v10
	s_delay_alu instid0(VALU_DEP_2) | instskip(SKIP_1) | instid1(VALU_DEP_2)
	v_mul_hi_u32 v17, s0, v3
	v_mul_lo_u32 v18, s47, v3
	v_add_nc_u32_e32 v11, v17, v11
	v_mul_lo_u32 v17, s0, v3
	s_delay_alu instid0(VALU_DEP_2) | instskip(NEXT) | instid1(VALU_DEP_2)
	v_add_nc_u32_e32 v11, v11, v18
	v_mul_hi_u32 v18, v3, v17
	s_delay_alu instid0(VALU_DEP_2)
	v_mul_lo_u32 v19, v3, v11
	v_mul_hi_u32 v20, v3, v11
	v_mul_hi_u32 v21, v10, v17
	v_mul_lo_u32 v17, v10, v17
	v_mul_hi_u32 v22, v10, v11
	v_mul_lo_u32 v11, v10, v11
	v_add_co_u32 v18, vcc_lo, v18, v19
	v_add_co_ci_u32_e32 v19, vcc_lo, 0, v20, vcc_lo
	s_delay_alu instid0(VALU_DEP_2) | instskip(NEXT) | instid1(VALU_DEP_2)
	v_add_co_u32 v17, vcc_lo, v18, v17
	v_add_co_ci_u32_e32 v17, vcc_lo, v19, v21, vcc_lo
	v_add_co_ci_u32_e32 v18, vcc_lo, 0, v22, vcc_lo
	v_ashrrev_i32_e32 v21, 31, v13
	s_delay_alu instid0(VALU_DEP_3) | instskip(NEXT) | instid1(VALU_DEP_3)
	v_add_co_u32 v11, vcc_lo, v17, v11
	v_add_co_ci_u32_e32 v17, vcc_lo, 0, v18, vcc_lo
	s_delay_alu instid0(VALU_DEP_2) | instskip(NEXT) | instid1(VALU_DEP_2)
	v_add_co_u32 v3, vcc_lo, v3, v11
	v_add_co_ci_u32_e32 v10, vcc_lo, v10, v17, vcc_lo
	s_delay_alu instid0(VALU_DEP_2) | instskip(SKIP_1) | instid1(VALU_DEP_3)
	v_mul_hi_u32 v11, s0, v3
	v_mul_lo_u32 v18, s47, v3
	v_mul_lo_u32 v17, s0, v10
	s_delay_alu instid0(VALU_DEP_1) | instskip(SKIP_1) | instid1(VALU_DEP_2)
	v_add_nc_u32_e32 v11, v11, v17
	v_mul_lo_u32 v17, s0, v3
	v_add_nc_u32_e32 v11, v11, v18
	s_delay_alu instid0(VALU_DEP_2) | instskip(NEXT) | instid1(VALU_DEP_2)
	v_mul_hi_u32 v18, v3, v17
	v_mul_lo_u32 v19, v3, v11
	v_mul_hi_u32 v20, v3, v11
	v_mul_hi_u32 v22, v10, v17
	v_mul_lo_u32 v17, v10, v17
	v_mul_hi_u32 v23, v10, v11
	v_mul_lo_u32 v11, v10, v11
	v_add_co_u32 v18, vcc_lo, v18, v19
	v_add_co_ci_u32_e32 v19, vcc_lo, 0, v20, vcc_lo
	s_delay_alu instid0(VALU_DEP_2) | instskip(NEXT) | instid1(VALU_DEP_2)
	v_add_co_u32 v17, vcc_lo, v18, v17
	v_add_co_ci_u32_e32 v17, vcc_lo, v19, v22, vcc_lo
	v_add_co_ci_u32_e32 v18, vcc_lo, 0, v23, vcc_lo
	v_add_co_u32 v12, vcc_lo, v12, v21
	v_add_co_ci_u32_e32 v13, vcc_lo, v13, v21, vcc_lo
	s_delay_alu instid0(VALU_DEP_4) | instskip(NEXT) | instid1(VALU_DEP_4)
	v_add_co_u32 v11, vcc_lo, v17, v11
	v_add_co_ci_u32_e32 v17, vcc_lo, 0, v18, vcc_lo
	s_delay_alu instid0(VALU_DEP_4) | instskip(NEXT) | instid1(VALU_DEP_3)
	v_xor_b32_e32 v19, v12, v21
	v_add_co_u32 v3, vcc_lo, v3, v11
	s_delay_alu instid0(VALU_DEP_3) | instskip(SKIP_1) | instid1(VALU_DEP_3)
	v_add_co_ci_u32_e32 v20, vcc_lo, v10, v17, vcc_lo
	v_xor_b32_e32 v22, v13, v21
	v_mul_hi_u32 v23, v19, v3
	s_delay_alu instid0(VALU_DEP_3) | instskip(NEXT) | instid1(VALU_DEP_3)
	v_mad_u64_u32 v[10:11], null, v19, v20, 0
	v_mad_u64_u32 v[12:13], null, v22, v3, 0
	;; [unrolled: 1-line block ×3, first 2 shown]
	s_delay_alu instid0(VALU_DEP_3) | instskip(NEXT) | instid1(VALU_DEP_4)
	v_add_co_u32 v3, vcc_lo, v23, v10
	v_add_co_ci_u32_e32 v10, vcc_lo, 0, v11, vcc_lo
	s_delay_alu instid0(VALU_DEP_2) | instskip(NEXT) | instid1(VALU_DEP_2)
	v_add_co_u32 v3, vcc_lo, v3, v12
	v_add_co_ci_u32_e32 v3, vcc_lo, v10, v13, vcc_lo
	v_add_co_ci_u32_e32 v10, vcc_lo, 0, v18, vcc_lo
	s_delay_alu instid0(VALU_DEP_2) | instskip(NEXT) | instid1(VALU_DEP_2)
	v_add_co_u32 v3, vcc_lo, v3, v17
	v_add_co_ci_u32_e32 v12, vcc_lo, 0, v10, vcc_lo
	s_delay_alu instid0(VALU_DEP_2) | instskip(SKIP_1) | instid1(VALU_DEP_3)
	v_mul_lo_u32 v13, s45, v3
	v_mad_u64_u32 v[10:11], null, s44, v3, 0
	v_mul_lo_u32 v3, s44, v12
	s_delay_alu instid0(VALU_DEP_2) | instskip(NEXT) | instid1(VALU_DEP_2)
	v_sub_co_u32 v10, vcc_lo, v19, v10
	v_add3_u32 v3, v11, v3, v13
	s_delay_alu instid0(VALU_DEP_1) | instskip(NEXT) | instid1(VALU_DEP_1)
	v_sub_nc_u32_e32 v11, v22, v3
	v_subrev_co_ci_u32_e64 v11, s0, s45, v11, vcc_lo
	v_sub_co_ci_u32_e32 v3, vcc_lo, v22, v3, vcc_lo
	v_sub_co_u32 v12, vcc_lo, v10, s44
	s_delay_alu instid0(VALU_DEP_1) | instskip(SKIP_3) | instid1(VALU_DEP_3)
	v_subrev_co_ci_u32_e64 v13, s0, 0, v11, vcc_lo
	v_cmp_le_u32_e64 s0, s44, v10
	v_subrev_co_ci_u32_e32 v11, vcc_lo, s45, v11, vcc_lo
	v_cmp_le_u32_e32 vcc_lo, s45, v3
	v_cndmask_b32_e64 v17, 0, -1, s0
	v_cmp_le_u32_e64 s0, s44, v12
	v_cndmask_b32_e64 v20, 0, -1, vcc_lo
	v_cmp_eq_u32_e32 vcc_lo, s45, v13
	s_delay_alu instid0(VALU_DEP_3) | instskip(SKIP_1) | instid1(VALU_DEP_1)
	v_cndmask_b32_e64 v18, 0, -1, s0
	v_cmp_le_u32_e64 s0, s45, v13
	v_cndmask_b32_e64 v19, 0, -1, s0
	v_cmp_eq_u32_e64 s0, s45, v3
	s_delay_alu instid0(VALU_DEP_2) | instskip(SKIP_2) | instid1(VALU_DEP_3)
	v_cndmask_b32_e32 v18, v19, v18, vcc_lo
	v_sub_co_u32 v19, vcc_lo, v12, s44
	v_subrev_co_ci_u32_e32 v11, vcc_lo, 0, v11, vcc_lo
	v_cmp_ne_u32_e32 vcc_lo, 0, v18
	v_cndmask_b32_e64 v17, v20, v17, s0
	s_delay_alu instid0(VALU_DEP_3) | instskip(SKIP_1) | instid1(VALU_DEP_3)
	v_cndmask_b32_e32 v11, v13, v11, vcc_lo
	v_cndmask_b32_e32 v12, v12, v19, vcc_lo
	v_cmp_ne_u32_e32 vcc_lo, 0, v17
	s_delay_alu instid0(VALU_DEP_2) | instskip(NEXT) | instid1(VALU_DEP_1)
	v_dual_cndmask_b32 v10, v10, v12 :: v_dual_cndmask_b32 v3, v3, v11
                                        ; implicit-def: $vgpr12_vgpr13
	v_xor_b32_e32 v10, v10, v21
	s_delay_alu instid0(VALU_DEP_2) | instskip(NEXT) | instid1(VALU_DEP_2)
	v_xor_b32_e32 v3, v3, v21
	v_sub_co_u32 v10, vcc_lo, v10, v21
	s_delay_alu instid0(VALU_DEP_2)
	v_sub_co_ci_u32_e32 v11, vcc_lo, v3, v21, vcc_lo
.LBB3_17:                               ;   in Loop: Header=BB3_3 Depth=1
	s_and_not1_saveexec_b32 s0, s46
	s_cbranch_execz .LBB3_19
; %bb.18:                               ;   in Loop: Header=BB3_3 Depth=1
	v_cvt_f32_u32_e32 v3, s10
	s_sub_i32 s44, 0, s10
	v_mov_b32_e32 v11, v2
	s_delay_alu instid0(VALU_DEP_2) | instskip(SKIP_2) | instid1(VALU_DEP_1)
	v_rcp_iflag_f32_e32 v3, v3
	s_waitcnt_depctr 0xfff
	v_mul_f32_e32 v3, 0x4f7ffffe, v3
	v_cvt_u32_f32_e32 v3, v3
	s_delay_alu instid0(VALU_DEP_1) | instskip(NEXT) | instid1(VALU_DEP_1)
	v_mul_lo_u32 v10, s44, v3
	v_mul_hi_u32 v10, v3, v10
	s_delay_alu instid0(VALU_DEP_1) | instskip(NEXT) | instid1(VALU_DEP_1)
	v_add_nc_u32_e32 v3, v3, v10
	v_mul_hi_u32 v3, v12, v3
	s_delay_alu instid0(VALU_DEP_1) | instskip(NEXT) | instid1(VALU_DEP_1)
	v_mul_lo_u32 v3, v3, s10
	v_sub_nc_u32_e32 v3, v12, v3
	s_delay_alu instid0(VALU_DEP_1) | instskip(SKIP_1) | instid1(VALU_DEP_2)
	v_subrev_nc_u32_e32 v10, s10, v3
	v_cmp_le_u32_e32 vcc_lo, s10, v3
	v_cndmask_b32_e32 v3, v3, v10, vcc_lo
	s_delay_alu instid0(VALU_DEP_1) | instskip(SKIP_1) | instid1(VALU_DEP_2)
	v_subrev_nc_u32_e32 v10, s10, v3
	v_cmp_le_u32_e32 vcc_lo, s10, v3
	v_cndmask_b32_e32 v10, v3, v10, vcc_lo
.LBB3_19:                               ;   in Loop: Header=BB3_3 Depth=1
	s_or_b32 exec_lo, exec_lo, s0
	v_mul_lo_u32 v3, v7, s4
	v_mul_lo_u32 v7, v6, s5
	v_mad_u64_u32 v[12:13], null, v6, s4, 0
	v_mul_lo_u32 v19, s23, v8
	v_mul_lo_u32 v20, s22, v9
	;; [unrolled: 1-line block ×4, first 2 shown]
	s_mov_b32 s44, -1
	s_mov_b32 s0, -1
	v_add3_u32 v6, v13, v7, v3
	v_sub_co_u32 v3, vcc_lo, v16, v12
	s_mov_b32 s45, exec_lo
                                        ; implicit-def: $sgpr47
	s_delay_alu instid0(VALU_DEP_2) | instskip(NEXT) | instid1(VALU_DEP_2)
	v_sub_co_ci_u32_e32 v12, vcc_lo, v15, v6, vcc_lo
	v_mul_lo_u32 v13, s21, v3
	v_mad_u64_u32 v[6:7], null, s20, v3, 0
	s_delay_alu instid0(VALU_DEP_3) | instskip(SKIP_1) | instid1(VALU_DEP_2)
	v_mul_lo_u32 v17, s20, v12
	v_mad_u64_u32 v[15:16], null, s22, v8, 0
	v_add3_u32 v7, v7, v17, v13
	v_mad_u64_u32 v[17:18], null, s24, v10, 0
	s_delay_alu instid0(VALU_DEP_3) | instskip(NEXT) | instid1(VALU_DEP_3)
	v_add3_u32 v16, v16, v20, v19
	v_lshlrev_b64 v[6:7], 3, v[6:7]
	s_delay_alu instid0(VALU_DEP_2) | instskip(NEXT) | instid1(VALU_DEP_4)
	v_lshlrev_b64 v[15:16], 3, v[15:16]
	v_add3_u32 v18, v18, v22, v21
	s_delay_alu instid0(VALU_DEP_3) | instskip(NEXT) | instid1(VALU_DEP_4)
	v_add_co_u32 v13, vcc_lo, s40, v6
	v_add_co_ci_u32_e32 v19, vcc_lo, s41, v7, vcc_lo
	s_delay_alu instid0(VALU_DEP_3) | instskip(NEXT) | instid1(VALU_DEP_3)
	v_lshlrev_b64 v[6:7], 3, v[17:18]
	v_add_co_u32 v13, vcc_lo, v13, v15
	s_delay_alu instid0(VALU_DEP_3) | instskip(NEXT) | instid1(VALU_DEP_2)
	v_add_co_ci_u32_e32 v15, vcc_lo, v19, v16, vcc_lo
	v_add_co_u32 v6, vcc_lo, v13, v6
	s_delay_alu instid0(VALU_DEP_2)
	v_add_co_ci_u32_e32 v7, vcc_lo, v15, v7, vcc_lo
	v_mov_b32_e32 v13, 0
	global_load_b64 v[6:7], v[6:7], off
	s_waitcnt vmcnt(0)
	v_cmpx_ne_u64_e64 s[30:31], v[6:7]
	s_cbranch_execz .LBB3_26
; %bb.20:                               ;   in Loop: Header=BB3_3 Depth=1
	v_cmp_lt_i64_e32 vcc_lo, -1, v[6:7]
	v_cmp_gt_i64_e64 s0, s[6:7], v[6:7]
	v_mov_b32_e32 v13, 0
	s_mov_b32 s46, 0
	s_delay_alu instid0(VALU_DEP_2) | instskip(NEXT) | instid1(SALU_CYCLE_1)
	s_and_b32 s47, vcc_lo, s0
	s_and_saveexec_b32 s0, s47
	s_cbranch_execz .LBB3_25
; %bb.21:                               ;   in Loop: Header=BB3_3 Depth=1
	v_mul_lo_u32 v13, s13, v3
	v_mul_lo_u32 v19, s12, v12
	v_mad_u64_u32 v[15:16], null, s12, v3, 0
	v_mul_lo_u32 v21, s15, v6
	v_mul_lo_u32 v22, s14, v7
	v_mad_u64_u32 v[17:18], null, s14, v6, 0
	v_mul_lo_u32 v23, s16, v9
	v_mul_lo_u32 v24, s19, v10
	v_add3_u32 v16, v16, v19, v13
	v_mul_lo_u32 v13, s17, v8
	v_mad_u64_u32 v[19:20], null, s16, v8, 0
	v_add3_u32 v18, v18, v22, v21
	s_delay_alu instid0(VALU_DEP_4) | instskip(SKIP_2) | instid1(VALU_DEP_4)
	v_lshlrev_b64 v[15:16], 1, v[15:16]
	v_mul_lo_u32 v25, s18, v11
	v_mad_u64_u32 v[21:22], null, s18, v10, 0
	v_lshlrev_b64 v[17:18], 1, v[17:18]
	v_add3_u32 v20, v20, v23, v13
	v_add_co_u32 v13, vcc_lo, s34, v15
	v_add_co_ci_u32_e32 v23, vcc_lo, s35, v16, vcc_lo
	s_delay_alu instid0(VALU_DEP_3) | instskip(SKIP_1) | instid1(VALU_DEP_4)
	v_lshlrev_b64 v[15:16], 1, v[19:20]
	v_add3_u32 v22, v22, v25, v24
	v_add_co_u32 v13, vcc_lo, v13, v17
	s_delay_alu instid0(VALU_DEP_4) | instskip(NEXT) | instid1(VALU_DEP_3)
	v_add_co_ci_u32_e32 v19, vcc_lo, v23, v18, vcc_lo
	v_lshlrev_b64 v[17:18], 1, v[21:22]
	s_delay_alu instid0(VALU_DEP_3) | instskip(NEXT) | instid1(VALU_DEP_3)
	v_add_co_u32 v13, vcc_lo, v13, v15
	v_add_co_ci_u32_e32 v16, vcc_lo, v19, v16, vcc_lo
	s_delay_alu instid0(VALU_DEP_2) | instskip(NEXT) | instid1(VALU_DEP_2)
	v_add_co_u32 v15, vcc_lo, v13, v17
	v_add_co_ci_u32_e32 v16, vcc_lo, v16, v18, vcc_lo
	s_and_not1_b32 vcc_lo, exec_lo, s48
	global_load_u16 v13, v[15:16], off
	s_cbranch_vccnz .LBB3_23
; %bb.22:                               ;   in Loop: Header=BB3_3 Depth=1
	v_lshlrev_b64 v[6:7], 1, v[6:7]
	s_delay_alu instid0(VALU_DEP_1) | instskip(NEXT) | instid1(VALU_DEP_2)
	v_add_co_u32 v6, vcc_lo, s28, v6
	v_add_co_ci_u32_e32 v7, vcc_lo, s29, v7, vcc_lo
	global_load_u16 v6, v[6:7], off
	s_branch .LBB3_24
.LBB3_23:                               ;   in Loop: Header=BB3_3 Depth=1
	v_mov_b32_e32 v6, 0x3f80
.LBB3_24:                               ;   in Loop: Header=BB3_3 Depth=1
	s_waitcnt vmcnt(0)
	v_lshlrev_b32_e32 v7, 16, v13
	s_delay_alu instid0(VALU_DEP_2) | instskip(SKIP_1) | instid1(VALU_DEP_2)
	v_lshlrev_b32_e32 v6, 16, v6
	s_mov_b32 s46, exec_lo
	v_xor_b32_e32 v13, 0x80000000, v7
	v_cmp_o_f32_e32 vcc_lo, v7, v7
	s_delay_alu instid0(VALU_DEP_2) | instskip(NEXT) | instid1(VALU_DEP_1)
	v_bfe_u32 v15, v13, 16, 1
	v_add3_u32 v13, v13, v15, 0x7fff
	s_delay_alu instid0(VALU_DEP_1) | instskip(NEXT) | instid1(VALU_DEP_1)
	v_and_b32_e32 v13, 0xffff0000, v13
	v_cndmask_b32_e32 v7, 0x7fc00000, v13, vcc_lo
	s_delay_alu instid0(VALU_DEP_1) | instskip(NEXT) | instid1(VALU_DEP_1)
	v_mul_f32_e32 v6, v7, v6
	v_bfe_u32 v7, v6, 16, 1
	v_cmp_o_f32_e32 vcc_lo, v6, v6
	s_delay_alu instid0(VALU_DEP_2) | instskip(NEXT) | instid1(VALU_DEP_1)
	v_add3_u32 v7, v6, v7, 0x7fff
	v_lshrrev_b32_e32 v7, 16, v7
	s_delay_alu instid0(VALU_DEP_1)
	v_cndmask_b32_e32 v13, 0x7fc0, v7, vcc_lo
.LBB3_25:                               ;   in Loop: Header=BB3_3 Depth=1
	s_or_b32 exec_lo, exec_lo, s0
	s_mov_b32 s47, -1
	s_or_not1_b32 s0, s46, exec_lo
.LBB3_26:                               ;   in Loop: Header=BB3_3 Depth=1
	s_or_b32 exec_lo, exec_lo, s45
	s_delay_alu instid0(SALU_CYCLE_1) | instskip(SKIP_1) | instid1(SALU_CYCLE_1)
	s_and_not1_b32 s45, s53, exec_lo
	s_and_b32 s46, s47, exec_lo
	s_or_b32 s53, s45, s46
	s_and_saveexec_b32 s45, s0
	s_cbranch_execz .LBB3_2
; %bb.27:                               ;   in Loop: Header=BB3_3 Depth=1
	v_mul_lo_u32 v17, s37, v3
	v_mul_lo_u32 v12, s36, v12
	v_mad_u64_u32 v[6:7], null, s36, v3, 0
	v_mul_lo_u32 v3, s39, v8
	v_mul_lo_u32 v9, s38, v9
	v_mad_u64_u32 v[15:16], null, s38, v8, 0
	v_add_co_u32 v0, s0, v0, 0
	v_add3_u32 v7, v7, v12, v17
	v_mul_lo_u32 v12, s43, v10
	v_mul_lo_u32 v17, s42, v11
	v_add_co_ci_u32_e64 v1, s0, s52, v1, s0
	v_add3_u32 v16, v16, v9, v3
	v_lshlrev_b64 v[6:7], 1, v[6:7]
	v_mad_u64_u32 v[8:9], null, s42, v10, 0
	s_and_not1_b32 s53, s53, exec_lo
	s_delay_alu instid0(VALU_DEP_3) | instskip(NEXT) | instid1(VALU_DEP_3)
	v_lshlrev_b64 v[10:11], 1, v[15:16]
	v_add_co_u32 v3, vcc_lo, s26, v6
	s_delay_alu instid0(VALU_DEP_4) | instskip(NEXT) | instid1(VALU_DEP_4)
	v_add_co_ci_u32_e32 v6, vcc_lo, s27, v7, vcc_lo
	v_add3_u32 v9, v9, v17, v12
	s_delay_alu instid0(VALU_DEP_3) | instskip(NEXT) | instid1(VALU_DEP_3)
	v_add_co_u32 v3, vcc_lo, v3, v10
	v_add_co_ci_u32_e32 v10, vcc_lo, v6, v11, vcc_lo
	s_delay_alu instid0(VALU_DEP_3) | instskip(SKIP_2) | instid1(VALU_DEP_3)
	v_lshlrev_b64 v[6:7], 1, v[8:9]
	v_add_co_u32 v4, vcc_lo, v4, s50
	v_add_co_ci_u32_e32 v5, vcc_lo, 0, v5, vcc_lo
	v_add_co_u32 v6, vcc_lo, v3, v6
	s_delay_alu instid0(VALU_DEP_4) | instskip(NEXT) | instid1(VALU_DEP_3)
	v_add_co_ci_u32_e32 v7, vcc_lo, v10, v7, vcc_lo
	v_cmp_le_i64_e32 vcc_lo, s[2:3], v[4:5]
	global_store_b16 v[6:7], v13, off
	s_or_not1_b32 s44, vcc_lo, exec_lo
	s_branch .LBB3_2
.LBB3_28:
	s_or_b32 exec_lo, exec_lo, s49
	s_and_saveexec_b32 s0, s51
	s_delay_alu instid0(SALU_CYCLE_1)
	s_xor_b32 s0, exec_lo, s0
	s_cbranch_execnz .LBB3_30
.LBB3_29:
	s_nop 0
	s_sendmsg sendmsg(MSG_DEALLOC_VGPRS)
	s_endpgm
.LBB3_30:
	s_cbranch_execnz .LBB3_32
; %bb.31:
	; divergent unreachable
	s_nop 0
	s_sendmsg sendmsg(MSG_DEALLOC_VGPRS)
	s_endpgm
.LBB3_32:
	s_trap 2
	s_sendmsg_rtn_b32 s0, sendmsg(MSG_RTN_GET_DOORBELL)
	s_mov_b32 ttmp2, m0
	s_waitcnt lgkmcnt(0)
	s_and_b32 s0, s0, 0x3ff
	s_delay_alu instid0(SALU_CYCLE_1) | instskip(NEXT) | instid1(SALU_CYCLE_1)
	s_bitset1_b32 s0, 10
	s_mov_b32 m0, s0
	s_sendmsg sendmsg(MSG_INTERRUPT)
	s_mov_b32 m0, ttmp2
.LBB3_33:                               ; =>This Inner Loop Header: Depth=1
	s_sethalt 5
	s_branch .LBB3_33
	.section	.rodata,"a",@progbits
	.p2align	6, 0x0
	.amdhsa_kernel _ZN2at6native12_GLOBAL__N_135nll_loss2d_forward_no_reduce_kernelIN3c108BFloat16EEEvlN5torch10headeronly6detail27GenericPackedTensorAccessorINS7_14TensorAccessorINS3_8ArrayRefIlEET_Lm3ENS6_16DefaultPtrTraitsElEENS_6detail16IndexBoundsCheckILm4ElEESC_Lm4ESD_lEENS8_INS9_ISB_lLm2ESD_lEENSG_ILm3ElEElLm3ESD_lEENS8_INS9_ISB_SC_Lm2ESD_lEESK_SC_Lm3ESD_lEEPKSC_l
		.amdhsa_group_segment_fixed_size 0
		.amdhsa_private_segment_fixed_size 0
		.amdhsa_kernarg_size 464
		.amdhsa_user_sgpr_count 15
		.amdhsa_user_sgpr_dispatch_ptr 0
		.amdhsa_user_sgpr_queue_ptr 0
		.amdhsa_user_sgpr_kernarg_segment_ptr 1
		.amdhsa_user_sgpr_dispatch_id 0
		.amdhsa_user_sgpr_private_segment_size 0
		.amdhsa_wavefront_size32 1
		.amdhsa_uses_dynamic_stack 0
		.amdhsa_enable_private_segment 0
		.amdhsa_system_sgpr_workgroup_id_x 1
		.amdhsa_system_sgpr_workgroup_id_y 0
		.amdhsa_system_sgpr_workgroup_id_z 0
		.amdhsa_system_sgpr_workgroup_info 0
		.amdhsa_system_vgpr_workitem_id 0
		.amdhsa_next_free_vgpr 26
		.amdhsa_next_free_sgpr 56
		.amdhsa_reserve_vcc 1
		.amdhsa_float_round_mode_32 0
		.amdhsa_float_round_mode_16_64 0
		.amdhsa_float_denorm_mode_32 3
		.amdhsa_float_denorm_mode_16_64 3
		.amdhsa_dx10_clamp 1
		.amdhsa_ieee_mode 1
		.amdhsa_fp16_overflow 0
		.amdhsa_workgroup_processor_mode 1
		.amdhsa_memory_ordered 1
		.amdhsa_forward_progress 0
		.amdhsa_shared_vgpr_count 0
		.amdhsa_exception_fp_ieee_invalid_op 0
		.amdhsa_exception_fp_denorm_src 0
		.amdhsa_exception_fp_ieee_div_zero 0
		.amdhsa_exception_fp_ieee_overflow 0
		.amdhsa_exception_fp_ieee_underflow 0
		.amdhsa_exception_fp_ieee_inexact 0
		.amdhsa_exception_int_div_zero 0
	.end_amdhsa_kernel
	.section	.text._ZN2at6native12_GLOBAL__N_135nll_loss2d_forward_no_reduce_kernelIN3c108BFloat16EEEvlN5torch10headeronly6detail27GenericPackedTensorAccessorINS7_14TensorAccessorINS3_8ArrayRefIlEET_Lm3ENS6_16DefaultPtrTraitsElEENS_6detail16IndexBoundsCheckILm4ElEESC_Lm4ESD_lEENS8_INS9_ISB_lLm2ESD_lEENSG_ILm3ElEElLm3ESD_lEENS8_INS9_ISB_SC_Lm2ESD_lEESK_SC_Lm3ESD_lEEPKSC_l,"axG",@progbits,_ZN2at6native12_GLOBAL__N_135nll_loss2d_forward_no_reduce_kernelIN3c108BFloat16EEEvlN5torch10headeronly6detail27GenericPackedTensorAccessorINS7_14TensorAccessorINS3_8ArrayRefIlEET_Lm3ENS6_16DefaultPtrTraitsElEENS_6detail16IndexBoundsCheckILm4ElEESC_Lm4ESD_lEENS8_INS9_ISB_lLm2ESD_lEENSG_ILm3ElEElLm3ESD_lEENS8_INS9_ISB_SC_Lm2ESD_lEESK_SC_Lm3ESD_lEEPKSC_l,comdat
.Lfunc_end3:
	.size	_ZN2at6native12_GLOBAL__N_135nll_loss2d_forward_no_reduce_kernelIN3c108BFloat16EEEvlN5torch10headeronly6detail27GenericPackedTensorAccessorINS7_14TensorAccessorINS3_8ArrayRefIlEET_Lm3ENS6_16DefaultPtrTraitsElEENS_6detail16IndexBoundsCheckILm4ElEESC_Lm4ESD_lEENS8_INS9_ISB_lLm2ESD_lEENSG_ILm3ElEElLm3ESD_lEENS8_INS9_ISB_SC_Lm2ESD_lEESK_SC_Lm3ESD_lEEPKSC_l, .Lfunc_end3-_ZN2at6native12_GLOBAL__N_135nll_loss2d_forward_no_reduce_kernelIN3c108BFloat16EEEvlN5torch10headeronly6detail27GenericPackedTensorAccessorINS7_14TensorAccessorINS3_8ArrayRefIlEET_Lm3ENS6_16DefaultPtrTraitsElEENS_6detail16IndexBoundsCheckILm4ElEESC_Lm4ESD_lEENS8_INS9_ISB_lLm2ESD_lEENSG_ILm3ElEElLm3ESD_lEENS8_INS9_ISB_SC_Lm2ESD_lEESK_SC_Lm3ESD_lEEPKSC_l
                                        ; -- End function
	.section	.AMDGPU.csdata,"",@progbits
; Kernel info:
; codeLenInByte = 5324
; NumSgprs: 58
; NumVgprs: 26
; ScratchSize: 0
; MemoryBound: 0
; FloatMode: 240
; IeeeMode: 1
; LDSByteSize: 0 bytes/workgroup (compile time only)
; SGPRBlocks: 7
; VGPRBlocks: 3
; NumSGPRsForWavesPerEU: 58
; NumVGPRsForWavesPerEU: 26
; Occupancy: 16
; WaveLimiterHint : 1
; COMPUTE_PGM_RSRC2:SCRATCH_EN: 0
; COMPUTE_PGM_RSRC2:USER_SGPR: 15
; COMPUTE_PGM_RSRC2:TRAP_HANDLER: 0
; COMPUTE_PGM_RSRC2:TGID_X_EN: 1
; COMPUTE_PGM_RSRC2:TGID_Y_EN: 0
; COMPUTE_PGM_RSRC2:TGID_Z_EN: 0
; COMPUTE_PGM_RSRC2:TIDIG_COMP_CNT: 0
	.section	.text._ZN2at6native12_GLOBAL__N_125nll_loss2d_forward_kernelIddiEEvPT_S4_PKS3_PKlS6_iiil,"axG",@progbits,_ZN2at6native12_GLOBAL__N_125nll_loss2d_forward_kernelIddiEEvPT_S4_PKS3_PKlS6_iiil,comdat
	.globl	_ZN2at6native12_GLOBAL__N_125nll_loss2d_forward_kernelIddiEEvPT_S4_PKS3_PKlS6_iiil ; -- Begin function _ZN2at6native12_GLOBAL__N_125nll_loss2d_forward_kernelIddiEEvPT_S4_PKS3_PKlS6_iiil
	.p2align	8
	.type	_ZN2at6native12_GLOBAL__N_125nll_loss2d_forward_kernelIddiEEvPT_S4_PKS3_PKlS6_iiil,@function
_ZN2at6native12_GLOBAL__N_125nll_loss2d_forward_kernelIddiEEvPT_S4_PKS3_PKlS6_iiil: ; @_ZN2at6native12_GLOBAL__N_125nll_loss2d_forward_kernelIddiEEvPT_S4_PKS3_PKlS6_iiil
; %bb.0:
	s_load_b128 s[16:19], s[0:1], 0x28
	v_mov_b32_e32 v5, 0
	s_load_b32 s12, s[0:1], 0x4c
	s_mov_b32 s21, -1
	s_mov_b32 s20, exec_lo
	v_mov_b32_e32 v6, 0
	s_delay_alu instid0(VALU_DEP_1) | instskip(SKIP_3) | instid1(VALU_DEP_1)
	v_dual_mov_b32 v8, v6 :: v_dual_mov_b32 v7, v5
	s_waitcnt lgkmcnt(0)
	v_cvt_f32_u32_e32 v1, s18
	s_sub_i32 s3, 0, s18
	v_rcp_iflag_f32_e32 v1, v1
	s_waitcnt_depctr 0xfff
	v_mul_f32_e32 v1, 0x4f7ffffe, v1
	s_delay_alu instid0(VALU_DEP_1) | instskip(NEXT) | instid1(VALU_DEP_1)
	v_cvt_u32_f32_e32 v1, v1
	v_readfirstlane_b32 s2, v1
	s_delay_alu instid0(VALU_DEP_1) | instskip(NEXT) | instid1(SALU_CYCLE_1)
	s_mul_i32 s3, s3, s2
	s_mul_hi_u32 s3, s2, s3
	s_delay_alu instid0(SALU_CYCLE_1) | instskip(NEXT) | instid1(SALU_CYCLE_1)
	s_add_i32 s2, s2, s3
	s_mul_hi_u32 s4, s15, s2
	s_delay_alu instid0(SALU_CYCLE_1)
	s_mul_i32 s2, s4, s18
	s_add_i32 s6, s4, 1
	s_sub_i32 s5, s15, s2
	s_load_b64 s[2:3], s[0:1], 0x20
	s_sub_i32 s7, s5, s18
	s_cmp_ge_u32 s5, s18
	s_cselect_b32 s13, s6, s4
	s_cselect_b32 s4, s7, s5
	s_add_i32 s14, s13, 1
	s_cmp_ge_u32 s4, s18
	s_load_b256 s[4:11], s[0:1], 0x0
	s_cselect_b32 s14, s14, s13
	s_and_b32 s19, s12, 0xffff
	s_mul_i32 s13, s14, s18
	s_mov_b32 s12, 0
	s_sub_i32 s15, s15, s13
	s_mov_b32 s13, 0
	s_mul_i32 s15, s15, s19
	s_delay_alu instid0(SALU_CYCLE_1) | instskip(NEXT) | instid1(VALU_DEP_1)
	v_add_nc_u32_e32 v12, s15, v0
	v_cmpx_gt_i32_e64 s17, v12
	s_cbranch_execnz .LBB4_7
; %bb.1:
	s_or_b32 exec_lo, exec_lo, s20
	s_and_saveexec_b32 s0, s21
	s_waitcnt lgkmcnt(0)
	s_xor_b32 s2, exec_lo, s0
	s_cbranch_execnz .LBB4_23
.LBB4_2:
	s_or_b32 exec_lo, exec_lo, s2
	s_mov_b32 s0, 0
	s_and_saveexec_b32 s1, s13
	s_cbranch_execnz .LBB4_49
.LBB4_3:
	s_or_b32 exec_lo, exec_lo, s1
	s_and_saveexec_b32 s1, s12
	s_cbranch_execnz .LBB4_51
.LBB4_4:
	s_or_b32 exec_lo, exec_lo, s1
	s_and_saveexec_b32 s1, s0
.LBB4_5:
	; divergent unreachable
.LBB4_6:
	s_endpgm
.LBB4_7:
	s_mul_i32 s21, s14, s17
	s_load_b64 s[12:13], s[0:1], 0x38
	v_add3_u32 v3, s15, s21, v0
	v_dual_mov_b32 v1, 0 :: v_dual_mov_b32 v6, 0
	v_mov_b32_e32 v2, 0
	s_mul_i32 s14, s19, s18
	s_delay_alu instid0(VALU_DEP_3)
	v_ashrrev_i32_e32 v4, 31, v3
	s_waitcnt lgkmcnt(0)
	s_cmp_lg_u64 s[2:3], 0
	s_mul_i32 s21, s21, s16
	s_cselect_b32 s18, -1, 0
	s_ashr_i32 s15, s14, 31
	v_lshlrev_b64 v[3:4], 3, v[3:4]
	s_mov_b32 s22, 0
                                        ; implicit-def: $sgpr1
	s_delay_alu instid0(VALU_DEP_1) | instskip(NEXT) | instid1(VALU_DEP_2)
	v_add_co_u32 v7, vcc_lo, s10, v3
	v_add_co_ci_u32_e32 v8, vcc_lo, s11, v4, vcc_lo
	v_dual_mov_b32 v4, v2 :: v_dual_mov_b32 v3, v1
	s_lshl_b64 s[10:11], s[14:15], 3
                                        ; implicit-def: $sgpr15
	s_branch .LBB4_9
.LBB4_8:                                ;   in Loop: Header=BB4_9 Depth=1
	s_or_b32 exec_lo, exec_lo, s23
	s_xor_b32 s23, s25, -1
	s_xor_b32 s24, s24, -1
	s_and_b32 s0, exec_lo, s0
	s_delay_alu instid0(SALU_CYCLE_1)
	s_or_b32 s22, s0, s22
	s_and_not1_b32 s0, s1, exec_lo
	s_and_b32 s1, s23, exec_lo
	s_and_not1_b32 s15, s15, exec_lo
	s_and_b32 s23, s24, exec_lo
	s_or_b32 s1, s0, s1
	s_or_b32 s15, s15, s23
	s_and_not1_b32 exec_lo, exec_lo, s22
	s_cbranch_execz .LBB4_20
.LBB4_9:                                ; =>This Inner Loop Header: Depth=1
	global_load_b64 v[9:10], v[7:8], off
	s_mov_b32 s26, -1
	s_mov_b32 s23, exec_lo
                                        ; implicit-def: $sgpr24
                                        ; implicit-def: $sgpr25
	s_waitcnt vmcnt(0)
	v_ashrrev_i32_e32 v10, 31, v9
	s_delay_alu instid0(VALU_DEP_1)
	v_cmpx_ne_u64_e64 s[12:13], v[9:10]
	s_cbranch_execz .LBB4_18
; %bb.10:                               ;   in Loop: Header=BB4_9 Depth=1
	v_cmp_lt_i32_e32 vcc_lo, -1, v9
	v_cmp_gt_i32_e64 s0, s16, v9
	s_mov_b32 s27, -1
	s_mov_b32 s26, 0
	s_mov_b32 s25, 0
	s_delay_alu instid0(VALU_DEP_1) | instskip(NEXT) | instid1(SALU_CYCLE_1)
	s_and_b32 s24, vcc_lo, s0
	s_and_saveexec_b32 s0, s24
	s_cbranch_execz .LBB4_17
; %bb.11:                               ;   in Loop: Header=BB4_9 Depth=1
	s_and_not1_b32 vcc_lo, exec_lo, s18
	s_cbranch_vccnz .LBB4_13
; %bb.12:                               ;   in Loop: Header=BB4_9 Depth=1
	v_lshlrev_b64 v[10:11], 3, v[9:10]
	s_delay_alu instid0(VALU_DEP_1) | instskip(NEXT) | instid1(VALU_DEP_2)
	v_add_co_u32 v10, vcc_lo, s2, v10
	v_add_co_ci_u32_e32 v11, vcc_lo, s3, v11, vcc_lo
	global_load_b64 v[10:11], v[10:11], off
	s_branch .LBB4_14
.LBB4_13:                               ;   in Loop: Header=BB4_9 Depth=1
	v_mov_b32_e32 v10, 0
	v_mov_b32_e32 v11, 0x3ff00000
.LBB4_14:                               ;   in Loop: Header=BB4_9 Depth=1
	v_mul_lo_u32 v5, v9, s17
	s_mov_b32 s24, 0
	s_mov_b32 s25, exec_lo
	s_delay_alu instid0(VALU_DEP_1) | instskip(NEXT) | instid1(VALU_DEP_1)
	v_add3_u32 v5, s21, v12, v5
	v_cmpx_lt_i32_e32 -1, v5
	s_cbranch_execz .LBB4_16
; %bb.15:                               ;   in Loop: Header=BB4_9 Depth=1
	v_lshlrev_b64 v[13:14], 3, v[5:6]
	s_waitcnt vmcnt(0)
	v_add_f64 v[3:4], v[3:4], v[10:11]
	s_mov_b32 s24, exec_lo
	s_delay_alu instid0(VALU_DEP_2) | instskip(NEXT) | instid1(VALU_DEP_3)
	v_add_co_u32 v13, vcc_lo, s8, v13
	v_add_co_ci_u32_e32 v14, vcc_lo, s9, v14, vcc_lo
	global_load_b64 v[13:14], v[13:14], off
	s_waitcnt vmcnt(0)
	v_fma_f64 v[1:2], -v[10:11], v[13:14], v[1:2]
.LBB4_16:                               ;   in Loop: Header=BB4_9 Depth=1
	s_or_b32 exec_lo, exec_lo, s25
	s_delay_alu instid0(SALU_CYCLE_1)
	s_mov_b32 s25, exec_lo
	s_xor_b32 s27, exec_lo, -1
	s_and_b32 s26, s24, exec_lo
.LBB4_17:                               ;   in Loop: Header=BB4_9 Depth=1
	s_or_b32 exec_lo, exec_lo, s0
	s_delay_alu instid0(SALU_CYCLE_1)
	s_and_b32 s25, s25, exec_lo
	s_and_b32 s24, s27, exec_lo
	s_or_not1_b32 s26, s26, exec_lo
.LBB4_18:                               ;   in Loop: Header=BB4_9 Depth=1
	s_or_b32 exec_lo, exec_lo, s23
	s_mov_b32 s0, -1
	s_and_saveexec_b32 s23, s26
	s_cbranch_execz .LBB4_8
; %bb.19:                               ;   in Loop: Header=BB4_9 Depth=1
	v_add_nc_u32_e32 v12, s14, v12
	v_add_co_u32 v7, s0, v7, s10
	s_delay_alu instid0(VALU_DEP_1) | instskip(NEXT) | instid1(VALU_DEP_3)
	v_add_co_ci_u32_e64 v8, s0, s11, v8, s0
	v_cmp_le_i32_e32 vcc_lo, s17, v12
	s_and_not1_b32 s25, s25, exec_lo
	s_and_not1_b32 s24, s24, exec_lo
	s_or_not1_b32 s0, vcc_lo, exec_lo
	s_branch .LBB4_8
.LBB4_20:
	s_or_b32 exec_lo, exec_lo, s22
	v_mov_b32_e32 v5, 0
	v_mov_b32_e32 v6, 0
	s_mov_b32 s2, 0
	s_mov_b32 s8, -1
	s_mov_b32 s0, 0
	s_delay_alu instid0(VALU_DEP_1) | instskip(SKIP_1) | instid1(SALU_CYCLE_1)
	v_dual_mov_b32 v8, v6 :: v_dual_mov_b32 v7, v5
	s_and_saveexec_b32 s3, s15
	s_xor_b32 s3, exec_lo, s3
; %bb.21:
	s_delay_alu instid0(VALU_DEP_4)
	v_dual_mov_b32 v6, v2 :: v_dual_mov_b32 v5, v1
	v_dual_mov_b32 v8, v4 :: v_dual_mov_b32 v7, v3
	s_mov_b32 s0, exec_lo
	s_xor_b32 s8, exec_lo, -1
	s_and_b32 s2, s1, exec_lo
; %bb.22:
	s_or_b32 exec_lo, exec_lo, s3
	s_delay_alu instid0(SALU_CYCLE_1) | instskip(SKIP_4) | instid1(SALU_CYCLE_1)
	s_and_b32 s12, s8, exec_lo
	s_and_b32 s13, s0, exec_lo
	s_or_not1_b32 s21, s2, exec_lo
	s_or_b32 exec_lo, exec_lo, s20
	s_and_saveexec_b32 s0, s21
	s_xor_b32 s2, exec_lo, s0
	s_cbranch_execz .LBB4_2
.LBB4_23:
	s_waitcnt vmcnt(0)
	v_mbcnt_lo_u32_b32 v11, -1, 0
	v_and_b32_e32 v12, 31, v0
	s_barrier
	buffer_gl0_inv
	v_cmp_gt_u32_e32 vcc_lo, 16, v11
	v_cndmask_b32_e64 v1, 0, 1, vcc_lo
	v_cmp_gt_u32_e32 vcc_lo, 24, v11
	s_delay_alu instid0(VALU_DEP_2) | instskip(SKIP_2) | instid1(VALU_DEP_3)
	v_lshlrev_b32_e32 v1, 4, v1
	v_cndmask_b32_e64 v3, 0, 1, vcc_lo
	v_cmp_gt_u32_e32 vcc_lo, 28, v11
	v_add_lshl_u32 v9, v1, v11, 2
	s_delay_alu instid0(VALU_DEP_3)
	v_lshlrev_b32_e32 v3, 3, v3
	ds_bpermute_b32 v1, v9, v7
	ds_bpermute_b32 v2, v9, v8
	s_waitcnt lgkmcnt(0)
	v_add_f64 v[1:2], v[7:8], v[1:2]
	v_add_lshl_u32 v7, v3, v11, 2
	ds_bpermute_b32 v3, v7, v1
	ds_bpermute_b32 v4, v7, v2
	s_waitcnt lgkmcnt(0)
	v_add_f64 v[1:2], v[1:2], v[3:4]
	v_cndmask_b32_e64 v3, 0, 1, vcc_lo
	v_cmp_gt_u32_e32 vcc_lo, 30, v11
	s_delay_alu instid0(VALU_DEP_2) | instskip(NEXT) | instid1(VALU_DEP_1)
	v_lshlrev_b32_e32 v3, 2, v3
	v_add_lshl_u32 v8, v3, v11, 2
	ds_bpermute_b32 v3, v8, v1
	ds_bpermute_b32 v4, v8, v2
	s_waitcnt lgkmcnt(0)
	v_add_f64 v[1:2], v[1:2], v[3:4]
	v_cndmask_b32_e64 v3, 0, 1, vcc_lo
	v_cmp_ne_u32_e32 vcc_lo, 31, v11
	s_delay_alu instid0(VALU_DEP_2) | instskip(NEXT) | instid1(VALU_DEP_1)
	v_lshlrev_b32_e32 v3, 1, v3
	v_add_lshl_u32 v10, v3, v11, 2
	ds_bpermute_b32 v3, v10, v1
	ds_bpermute_b32 v4, v10, v2
	s_waitcnt lgkmcnt(0)
	v_add_f64 v[1:2], v[1:2], v[3:4]
	v_add_co_ci_u32_e32 v3, vcc_lo, 0, v11, vcc_lo
	v_cmp_eq_u32_e32 vcc_lo, 0, v12
	s_delay_alu instid0(VALU_DEP_2)
	v_lshlrev_b32_e32 v11, 2, v3
	ds_bpermute_b32 v3, v11, v1
	ds_bpermute_b32 v4, v11, v2
	s_and_saveexec_b32 s0, vcc_lo
	s_cbranch_execz .LBB4_25
; %bb.24:
	s_waitcnt lgkmcnt(0)
	v_add_f64 v[1:2], v[1:2], v[3:4]
	v_lshrrev_b32_e32 v3, 2, v0
	ds_store_b64 v3, v[1:2] offset:8192
.LBB4_25:
	s_or_b32 exec_lo, exec_lo, s0
	s_lshr_b32 s0, s19, 5
	v_mov_b32_e32 v1, 0
	v_mov_b32_e32 v2, 0
	v_cmp_gt_u32_e64 s0, s0, v0
	s_waitcnt lgkmcnt(0)
	s_barrier
	buffer_gl0_inv
	s_and_saveexec_b32 s1, s0
	s_cbranch_execz .LBB4_27
; %bb.26:
	v_lshlrev_b32_e32 v1, 3, v12
	ds_load_b64 v[1:2], v1 offset:8192
.LBB4_27:
	s_or_b32 exec_lo, exec_lo, s1
	v_cmp_gt_u32_e64 s1, 32, v0
	s_delay_alu instid0(VALU_DEP_1)
	s_and_saveexec_b32 s3, s1
	s_cbranch_execz .LBB4_29
; %bb.28:
	s_waitcnt lgkmcnt(0)
	ds_bpermute_b32 v3, v9, v1
	ds_bpermute_b32 v4, v9, v2
	s_waitcnt lgkmcnt(0)
	v_add_f64 v[1:2], v[1:2], v[3:4]
	ds_bpermute_b32 v3, v7, v1
	ds_bpermute_b32 v4, v7, v2
	s_waitcnt lgkmcnt(0)
	v_add_f64 v[1:2], v[1:2], v[3:4]
	;; [unrolled: 4-line block ×5, first 2 shown]
.LBB4_29:
	s_or_b32 exec_lo, exec_lo, s3
	ds_bpermute_b32 v3, v9, v5
	ds_bpermute_b32 v4, v9, v6
	s_waitcnt lgkmcnt(0)
	s_barrier
	buffer_gl0_inv
	v_add_f64 v[3:4], v[5:6], v[3:4]
	ds_bpermute_b32 v5, v7, v3
	ds_bpermute_b32 v6, v7, v4
	s_waitcnt lgkmcnt(0)
	v_add_f64 v[3:4], v[3:4], v[5:6]
	ds_bpermute_b32 v5, v8, v3
	ds_bpermute_b32 v6, v8, v4
	s_waitcnt lgkmcnt(0)
	;; [unrolled: 4-line block ×3, first 2 shown]
	v_add_f64 v[3:4], v[3:4], v[5:6]
	ds_bpermute_b32 v5, v11, v3
	ds_bpermute_b32 v6, v11, v4
	s_and_saveexec_b32 s3, vcc_lo
	s_cbranch_execz .LBB4_31
; %bb.30:
	s_waitcnt lgkmcnt(0)
	v_add_f64 v[3:4], v[3:4], v[5:6]
	v_lshrrev_b32_e32 v5, 2, v0
	ds_store_b64 v5, v[3:4]
.LBB4_31:
	s_or_b32 exec_lo, exec_lo, s3
	s_waitcnt lgkmcnt(1)
	v_mov_b32_e32 v4, 0
	v_mov_b32_e32 v5, 0
	s_waitcnt lgkmcnt(0)
	s_barrier
	buffer_gl0_inv
	s_and_saveexec_b32 s3, s0
	s_cbranch_execz .LBB4_33
; %bb.32:
	v_lshlrev_b32_e32 v3, 3, v12
	ds_load_b64 v[4:5], v3
.LBB4_33:
	s_or_b32 exec_lo, exec_lo, s3
	s_and_saveexec_b32 s0, s1
	s_cbranch_execz .LBB4_35
; %bb.34:
	s_waitcnt lgkmcnt(0)
	ds_bpermute_b32 v12, v9, v4
	ds_bpermute_b32 v13, v9, v5
	s_waitcnt lgkmcnt(0)
	v_add_f64 v[3:4], v[4:5], v[12:13]
	ds_bpermute_b32 v5, v7, v3
	ds_bpermute_b32 v6, v7, v4
	s_waitcnt lgkmcnt(0)
	v_add_f64 v[3:4], v[3:4], v[5:6]
	;; [unrolled: 4-line block ×5, first 2 shown]
.LBB4_35:
	s_or_b32 exec_lo, exec_lo, s0
	s_delay_alu instid0(SALU_CYCLE_1)
	s_mov_b32 s0, exec_lo
	v_cmpx_eq_u32_e32 0, v0
	s_cbranch_execz .LBB4_48
; %bb.36:
	v_mov_b32_e32 v6, 0
	v_bfrev_b32_e32 v7, 1
	s_mov_b32 s1, exec_lo
.LBB4_37:                               ; =>This Inner Loop Header: Depth=1
	s_delay_alu instid0(SALU_CYCLE_1) | instskip(NEXT) | instid1(SALU_CYCLE_1)
	s_ctz_i32_b32 s3, s1
	v_readlane_b32 s9, v2, s3
	v_readlane_b32 s8, v1, s3
	s_lshl_b32 s3, 1, s3
	s_delay_alu instid0(SALU_CYCLE_1) | instskip(NEXT) | instid1(VALU_DEP_1)
	s_and_not1_b32 s1, s1, s3
	v_add_f64 v[6:7], v[6:7], s[8:9]
	s_cmp_lg_u32 s1, 0
	s_cbranch_scc1 .LBB4_37
; %bb.38:
	v_mbcnt_lo_u32_b32 v0, exec_lo, 0
	s_mov_b32 s3, 0
	s_mov_b32 s1, exec_lo
	s_delay_alu instid0(VALU_DEP_1)
	v_cmpx_eq_u32_e32 0, v0
	s_xor_b32 s1, exec_lo, s1
	s_cbranch_execz .LBB4_42
; %bb.39:
	s_load_b64 s[8:9], s[6:7], 0x0
	v_mov_b32_e32 v8, 0
	s_waitcnt lgkmcnt(0)
	v_dual_mov_b32 v2, s8 :: v_dual_mov_b32 v3, s9
.LBB4_40:                               ; =>This Inner Loop Header: Depth=1
	s_delay_alu instid0(VALU_DEP_1)
	v_add_f64 v[0:1], v[2:3], v[6:7]
	global_atomic_cmpswap_b64 v[0:1], v8, v[0:3], s[6:7] glc
	s_waitcnt vmcnt(0)
	v_cmp_eq_u64_e32 vcc_lo, v[0:1], v[2:3]
	v_dual_mov_b32 v3, v1 :: v_dual_mov_b32 v2, v0
	s_or_b32 s3, vcc_lo, s3
	s_delay_alu instid0(SALU_CYCLE_1)
	s_and_not1_b32 exec_lo, exec_lo, s3
	s_cbranch_execnz .LBB4_40
; %bb.41:
	s_or_b32 exec_lo, exec_lo, s3
.LBB4_42:
	s_delay_alu instid0(SALU_CYCLE_1)
	s_or_b32 exec_lo, exec_lo, s1
	v_mov_b32_e32 v6, 0
	v_bfrev_b32_e32 v7, 1
	s_mov_b32 s1, exec_lo
.LBB4_43:                               ; =>This Inner Loop Header: Depth=1
	s_delay_alu instid0(SALU_CYCLE_1) | instskip(SKIP_4) | instid1(SALU_CYCLE_1)
	s_ctz_i32_b32 s3, s1
	s_waitcnt lgkmcnt(0)
	v_readlane_b32 s7, v5, s3
	v_readlane_b32 s6, v4, s3
	s_lshl_b32 s3, 1, s3
	s_and_not1_b32 s1, s1, s3
	s_delay_alu instid0(VALU_DEP_1)
	v_add_f64 v[6:7], v[6:7], s[6:7]
	s_cmp_lg_u32 s1, 0
	s_cbranch_scc1 .LBB4_43
; %bb.44:
	v_mbcnt_lo_u32_b32 v0, exec_lo, 0
	s_mov_b32 s1, 0
	s_mov_b32 s3, exec_lo
	s_delay_alu instid0(VALU_DEP_1)
	v_cmpx_eq_u32_e32 0, v0
	s_xor_b32 s3, exec_lo, s3
	s_cbranch_execz .LBB4_48
; %bb.45:
	v_mov_b32_e32 v4, 0
	global_load_b64 v[2:3], v4, s[4:5]
.LBB4_46:                               ; =>This Inner Loop Header: Depth=1
	s_waitcnt vmcnt(0)
	v_add_f64 v[0:1], v[2:3], v[6:7]
	global_atomic_cmpswap_b64 v[0:1], v4, v[0:3], s[4:5] glc
	s_waitcnt vmcnt(0)
	v_cmp_eq_u64_e32 vcc_lo, v[0:1], v[2:3]
	v_dual_mov_b32 v3, v1 :: v_dual_mov_b32 v2, v0
	s_or_b32 s1, vcc_lo, s1
	s_delay_alu instid0(SALU_CYCLE_1)
	s_and_not1_b32 exec_lo, exec_lo, s1
	s_cbranch_execnz .LBB4_46
; %bb.47:
	s_or_b32 exec_lo, exec_lo, s1
.LBB4_48:
	s_delay_alu instid0(SALU_CYCLE_1) | instskip(NEXT) | instid1(SALU_CYCLE_1)
	s_or_b32 exec_lo, exec_lo, s0
	s_and_not1_b32 s13, s13, exec_lo
	s_or_b32 exec_lo, exec_lo, s2
	s_mov_b32 s0, 0
	s_and_saveexec_b32 s1, s13
	s_cbranch_execz .LBB4_3
.LBB4_49:
	s_cbranch_execnz .LBB4_53
; %bb.50:
	s_mov_b32 s0, exec_lo
	s_or_b32 exec_lo, exec_lo, s1
	s_and_saveexec_b32 s1, s12
	s_cbranch_execz .LBB4_4
.LBB4_51:
	s_cbranch_execnz .LBB4_55
; %bb.52:
	s_or_b32 s0, s0, exec_lo
	s_or_b32 exec_lo, exec_lo, s1
	s_and_saveexec_b32 s1, s0
	s_cbranch_execnz .LBB4_5
	s_branch .LBB4_6
.LBB4_53:
	s_trap 2
	s_sendmsg_rtn_b32 s0, sendmsg(MSG_RTN_GET_DOORBELL)
	s_mov_b32 ttmp2, m0
	s_waitcnt lgkmcnt(0)
	s_and_b32 s0, s0, 0x3ff
	s_delay_alu instid0(SALU_CYCLE_1) | instskip(NEXT) | instid1(SALU_CYCLE_1)
	s_bitset1_b32 s0, 10
	s_mov_b32 m0, s0
	s_sendmsg sendmsg(MSG_INTERRUPT)
	s_mov_b32 m0, ttmp2
.LBB4_54:                               ; =>This Inner Loop Header: Depth=1
	s_sethalt 5
	s_branch .LBB4_54
.LBB4_55:
	s_trap 2
	s_sendmsg_rtn_b32 s0, sendmsg(MSG_RTN_GET_DOORBELL)
	s_mov_b32 ttmp2, m0
	s_waitcnt lgkmcnt(0)
	s_and_b32 s0, s0, 0x3ff
	s_delay_alu instid0(SALU_CYCLE_1) | instskip(NEXT) | instid1(SALU_CYCLE_1)
	s_bitset1_b32 s0, 10
	s_mov_b32 m0, s0
	s_sendmsg sendmsg(MSG_INTERRUPT)
	s_mov_b32 m0, ttmp2
.LBB4_56:                               ; =>This Inner Loop Header: Depth=1
	s_sethalt 5
	s_branch .LBB4_56
	.section	.rodata,"a",@progbits
	.p2align	6, 0x0
	.amdhsa_kernel _ZN2at6native12_GLOBAL__N_125nll_loss2d_forward_kernelIddiEEvPT_S4_PKS3_PKlS6_iiil
		.amdhsa_group_segment_fixed_size 16384
		.amdhsa_private_segment_fixed_size 0
		.amdhsa_kernarg_size 320
		.amdhsa_user_sgpr_count 15
		.amdhsa_user_sgpr_dispatch_ptr 0
		.amdhsa_user_sgpr_queue_ptr 0
		.amdhsa_user_sgpr_kernarg_segment_ptr 1
		.amdhsa_user_sgpr_dispatch_id 0
		.amdhsa_user_sgpr_private_segment_size 0
		.amdhsa_wavefront_size32 1
		.amdhsa_uses_dynamic_stack 0
		.amdhsa_enable_private_segment 0
		.amdhsa_system_sgpr_workgroup_id_x 1
		.amdhsa_system_sgpr_workgroup_id_y 0
		.amdhsa_system_sgpr_workgroup_id_z 0
		.amdhsa_system_sgpr_workgroup_info 0
		.amdhsa_system_vgpr_workitem_id 0
		.amdhsa_next_free_vgpr 15
		.amdhsa_next_free_sgpr 28
		.amdhsa_reserve_vcc 1
		.amdhsa_float_round_mode_32 0
		.amdhsa_float_round_mode_16_64 0
		.amdhsa_float_denorm_mode_32 3
		.amdhsa_float_denorm_mode_16_64 3
		.amdhsa_dx10_clamp 1
		.amdhsa_ieee_mode 1
		.amdhsa_fp16_overflow 0
		.amdhsa_workgroup_processor_mode 1
		.amdhsa_memory_ordered 1
		.amdhsa_forward_progress 0
		.amdhsa_shared_vgpr_count 0
		.amdhsa_exception_fp_ieee_invalid_op 0
		.amdhsa_exception_fp_denorm_src 0
		.amdhsa_exception_fp_ieee_div_zero 0
		.amdhsa_exception_fp_ieee_overflow 0
		.amdhsa_exception_fp_ieee_underflow 0
		.amdhsa_exception_fp_ieee_inexact 0
		.amdhsa_exception_int_div_zero 0
	.end_amdhsa_kernel
	.section	.text._ZN2at6native12_GLOBAL__N_125nll_loss2d_forward_kernelIddiEEvPT_S4_PKS3_PKlS6_iiil,"axG",@progbits,_ZN2at6native12_GLOBAL__N_125nll_loss2d_forward_kernelIddiEEvPT_S4_PKS3_PKlS6_iiil,comdat
.Lfunc_end4:
	.size	_ZN2at6native12_GLOBAL__N_125nll_loss2d_forward_kernelIddiEEvPT_S4_PKS3_PKlS6_iiil, .Lfunc_end4-_ZN2at6native12_GLOBAL__N_125nll_loss2d_forward_kernelIddiEEvPT_S4_PKS3_PKlS6_iiil
                                        ; -- End function
	.section	.AMDGPU.csdata,"",@progbits
; Kernel info:
; codeLenInByte = 2364
; NumSgprs: 30
; NumVgprs: 15
; ScratchSize: 0
; MemoryBound: 0
; FloatMode: 240
; IeeeMode: 1
; LDSByteSize: 16384 bytes/workgroup (compile time only)
; SGPRBlocks: 3
; VGPRBlocks: 1
; NumSGPRsForWavesPerEU: 30
; NumVGPRsForWavesPerEU: 15
; Occupancy: 16
; WaveLimiterHint : 1
; COMPUTE_PGM_RSRC2:SCRATCH_EN: 0
; COMPUTE_PGM_RSRC2:USER_SGPR: 15
; COMPUTE_PGM_RSRC2:TRAP_HANDLER: 0
; COMPUTE_PGM_RSRC2:TGID_X_EN: 1
; COMPUTE_PGM_RSRC2:TGID_Y_EN: 0
; COMPUTE_PGM_RSRC2:TGID_Z_EN: 0
; COMPUTE_PGM_RSRC2:TIDIG_COMP_CNT: 0
	.section	.text._ZN2at6native12_GLOBAL__N_138nll_loss2d_forward_size_average_kernelIdEEvPT_PKS3_,"axG",@progbits,_ZN2at6native12_GLOBAL__N_138nll_loss2d_forward_size_average_kernelIdEEvPT_PKS3_,comdat
	.globl	_ZN2at6native12_GLOBAL__N_138nll_loss2d_forward_size_average_kernelIdEEvPT_PKS3_ ; -- Begin function _ZN2at6native12_GLOBAL__N_138nll_loss2d_forward_size_average_kernelIdEEvPT_PKS3_
	.p2align	8
	.type	_ZN2at6native12_GLOBAL__N_138nll_loss2d_forward_size_average_kernelIdEEvPT_PKS3_,@function
_ZN2at6native12_GLOBAL__N_138nll_loss2d_forward_size_average_kernelIdEEvPT_PKS3_: ; @_ZN2at6native12_GLOBAL__N_138nll_loss2d_forward_size_average_kernelIdEEvPT_PKS3_
; %bb.0:
	s_load_b128 s[0:3], s[0:1], 0x0
	s_waitcnt lgkmcnt(0)
	s_load_b64 s[2:3], s[2:3], 0x0
	s_load_b64 s[4:5], s[0:1], 0x0
	s_waitcnt lgkmcnt(0)
	v_div_scale_f64 v[0:1], null, s[2:3], s[2:3], s[4:5]
	s_delay_alu instid0(VALU_DEP_1) | instskip(SKIP_2) | instid1(VALU_DEP_1)
	v_rcp_f64_e32 v[2:3], v[0:1]
	s_waitcnt_depctr 0xfff
	v_fma_f64 v[4:5], -v[0:1], v[2:3], 1.0
	v_fma_f64 v[2:3], v[2:3], v[4:5], v[2:3]
	s_delay_alu instid0(VALU_DEP_1) | instskip(NEXT) | instid1(VALU_DEP_1)
	v_fma_f64 v[4:5], -v[0:1], v[2:3], 1.0
	v_fma_f64 v[2:3], v[2:3], v[4:5], v[2:3]
	v_div_scale_f64 v[4:5], vcc_lo, s[4:5], s[2:3], s[4:5]
	s_delay_alu instid0(VALU_DEP_1) | instskip(NEXT) | instid1(VALU_DEP_1)
	v_mul_f64 v[6:7], v[4:5], v[2:3]
	v_fma_f64 v[0:1], -v[0:1], v[6:7], v[4:5]
	s_delay_alu instid0(VALU_DEP_1) | instskip(SKIP_1) | instid1(VALU_DEP_2)
	v_div_fmas_f64 v[0:1], v[0:1], v[2:3], v[6:7]
	v_mov_b32_e32 v2, 0
	v_div_fixup_f64 v[0:1], v[0:1], s[2:3], s[4:5]
	global_store_b64 v2, v[0:1], s[0:1]
	s_nop 0
	s_sendmsg sendmsg(MSG_DEALLOC_VGPRS)
	s_endpgm
	.section	.rodata,"a",@progbits
	.p2align	6, 0x0
	.amdhsa_kernel _ZN2at6native12_GLOBAL__N_138nll_loss2d_forward_size_average_kernelIdEEvPT_PKS3_
		.amdhsa_group_segment_fixed_size 0
		.amdhsa_private_segment_fixed_size 0
		.amdhsa_kernarg_size 16
		.amdhsa_user_sgpr_count 15
		.amdhsa_user_sgpr_dispatch_ptr 0
		.amdhsa_user_sgpr_queue_ptr 0
		.amdhsa_user_sgpr_kernarg_segment_ptr 1
		.amdhsa_user_sgpr_dispatch_id 0
		.amdhsa_user_sgpr_private_segment_size 0
		.amdhsa_wavefront_size32 1
		.amdhsa_uses_dynamic_stack 0
		.amdhsa_enable_private_segment 0
		.amdhsa_system_sgpr_workgroup_id_x 1
		.amdhsa_system_sgpr_workgroup_id_y 0
		.amdhsa_system_sgpr_workgroup_id_z 0
		.amdhsa_system_sgpr_workgroup_info 0
		.amdhsa_system_vgpr_workitem_id 0
		.amdhsa_next_free_vgpr 8
		.amdhsa_next_free_sgpr 6
		.amdhsa_reserve_vcc 1
		.amdhsa_float_round_mode_32 0
		.amdhsa_float_round_mode_16_64 0
		.amdhsa_float_denorm_mode_32 3
		.amdhsa_float_denorm_mode_16_64 3
		.amdhsa_dx10_clamp 1
		.amdhsa_ieee_mode 1
		.amdhsa_fp16_overflow 0
		.amdhsa_workgroup_processor_mode 1
		.amdhsa_memory_ordered 1
		.amdhsa_forward_progress 0
		.amdhsa_shared_vgpr_count 0
		.amdhsa_exception_fp_ieee_invalid_op 0
		.amdhsa_exception_fp_denorm_src 0
		.amdhsa_exception_fp_ieee_div_zero 0
		.amdhsa_exception_fp_ieee_overflow 0
		.amdhsa_exception_fp_ieee_underflow 0
		.amdhsa_exception_fp_ieee_inexact 0
		.amdhsa_exception_int_div_zero 0
	.end_amdhsa_kernel
	.section	.text._ZN2at6native12_GLOBAL__N_138nll_loss2d_forward_size_average_kernelIdEEvPT_PKS3_,"axG",@progbits,_ZN2at6native12_GLOBAL__N_138nll_loss2d_forward_size_average_kernelIdEEvPT_PKS3_,comdat
.Lfunc_end5:
	.size	_ZN2at6native12_GLOBAL__N_138nll_loss2d_forward_size_average_kernelIdEEvPT_PKS3_, .Lfunc_end5-_ZN2at6native12_GLOBAL__N_138nll_loss2d_forward_size_average_kernelIdEEvPT_PKS3_
                                        ; -- End function
	.section	.AMDGPU.csdata,"",@progbits
; Kernel info:
; codeLenInByte = 160
; NumSgprs: 8
; NumVgprs: 8
; ScratchSize: 0
; MemoryBound: 1
; FloatMode: 240
; IeeeMode: 1
; LDSByteSize: 0 bytes/workgroup (compile time only)
; SGPRBlocks: 0
; VGPRBlocks: 0
; NumSGPRsForWavesPerEU: 8
; NumVGPRsForWavesPerEU: 8
; Occupancy: 16
; WaveLimiterHint : 1
; COMPUTE_PGM_RSRC2:SCRATCH_EN: 0
; COMPUTE_PGM_RSRC2:USER_SGPR: 15
; COMPUTE_PGM_RSRC2:TRAP_HANDLER: 0
; COMPUTE_PGM_RSRC2:TGID_X_EN: 1
; COMPUTE_PGM_RSRC2:TGID_Y_EN: 0
; COMPUTE_PGM_RSRC2:TGID_Z_EN: 0
; COMPUTE_PGM_RSRC2:TIDIG_COMP_CNT: 0
	.section	.text._ZN2at6native12_GLOBAL__N_125nll_loss2d_forward_kernelIddlEEvPT_S4_PKS3_PKlS6_iiil,"axG",@progbits,_ZN2at6native12_GLOBAL__N_125nll_loss2d_forward_kernelIddlEEvPT_S4_PKS3_PKlS6_iiil,comdat
	.globl	_ZN2at6native12_GLOBAL__N_125nll_loss2d_forward_kernelIddlEEvPT_S4_PKS3_PKlS6_iiil ; -- Begin function _ZN2at6native12_GLOBAL__N_125nll_loss2d_forward_kernelIddlEEvPT_S4_PKS3_PKlS6_iiil
	.p2align	8
	.type	_ZN2at6native12_GLOBAL__N_125nll_loss2d_forward_kernelIddlEEvPT_S4_PKS3_PKlS6_iiil,@function
_ZN2at6native12_GLOBAL__N_125nll_loss2d_forward_kernelIddlEEvPT_S4_PKS3_PKlS6_iiil: ; @_ZN2at6native12_GLOBAL__N_125nll_loss2d_forward_kernelIddlEEvPT_S4_PKS3_PKlS6_iiil
; %bb.0:
	s_clause 0x1
	s_load_b128 s[16:19], s[0:1], 0x28
	s_load_b32 s12, s[0:1], 0x4c
	s_mov_b32 s20, exec_lo
	v_mov_b32_e32 v6, 0
	v_mov_b32_e32 v7, 0
	s_delay_alu instid0(VALU_DEP_1) | instskip(SKIP_3) | instid1(VALU_DEP_1)
	v_dual_mov_b32 v9, v7 :: v_dual_mov_b32 v8, v6
	s_waitcnt lgkmcnt(0)
	v_cvt_f32_u32_e32 v1, s18
	s_sub_i32 s3, 0, s18
	v_rcp_iflag_f32_e32 v1, v1
	s_waitcnt_depctr 0xfff
	v_mul_f32_e32 v1, 0x4f7ffffe, v1
	s_delay_alu instid0(VALU_DEP_1) | instskip(NEXT) | instid1(VALU_DEP_1)
	v_cvt_u32_f32_e32 v1, v1
	v_readfirstlane_b32 s2, v1
	s_delay_alu instid0(VALU_DEP_1) | instskip(NEXT) | instid1(SALU_CYCLE_1)
	s_mul_i32 s3, s3, s2
	s_mul_hi_u32 s3, s2, s3
	s_delay_alu instid0(SALU_CYCLE_1) | instskip(NEXT) | instid1(SALU_CYCLE_1)
	s_add_i32 s2, s2, s3
	s_mul_hi_u32 s4, s15, s2
	s_delay_alu instid0(SALU_CYCLE_1)
	s_mul_i32 s2, s4, s18
	s_add_i32 s6, s4, 1
	s_sub_i32 s5, s15, s2
	s_load_b64 s[2:3], s[0:1], 0x20
	s_sub_i32 s7, s5, s18
	s_cmp_ge_u32 s5, s18
	s_cselect_b32 s13, s6, s4
	s_cselect_b32 s4, s7, s5
	s_add_i32 s14, s13, 1
	s_cmp_ge_u32 s4, s18
	s_load_b256 s[4:11], s[0:1], 0x0
	s_cselect_b32 s14, s14, s13
	s_and_b32 s19, s12, 0xffff
	s_mul_i32 s13, s14, s18
	s_delay_alu instid0(SALU_CYCLE_1) | instskip(SKIP_4) | instid1(VALU_DEP_1)
	s_sub_i32 s12, s15, s13
	s_mov_b32 s13, 0
	v_mad_u64_u32 v[1:2], null, s12, s19, v[0:1]
	s_mov_b32 s15, -1
	s_mov_b32 s12, 0
	v_cmpx_gt_i32_e64 s17, v1
	s_cbranch_execnz .LBB6_7
; %bb.1:
	s_or_b32 exec_lo, exec_lo, s20
	s_and_saveexec_b32 s0, s15
	s_waitcnt lgkmcnt(0)
	s_xor_b32 s2, exec_lo, s0
	s_cbranch_execnz .LBB6_23
.LBB6_2:
	s_or_b32 exec_lo, exec_lo, s2
	s_mov_b32 s0, 0
	s_and_saveexec_b32 s1, s13
	s_cbranch_execnz .LBB6_49
.LBB6_3:
	s_or_b32 exec_lo, exec_lo, s1
	s_and_saveexec_b32 s1, s12
	s_cbranch_execnz .LBB6_51
.LBB6_4:
	s_or_b32 exec_lo, exec_lo, s1
	s_and_saveexec_b32 s1, s0
.LBB6_5:
	; divergent unreachable
.LBB6_6:
	s_endpgm
.LBB6_7:
	s_load_b64 s[12:13], s[0:1], 0x38
	s_ashr_i32 s1, s17, 31
	v_ashrrev_i32_e32 v2, 31, v1
	s_mul_hi_u32 s0, s14, s17
	s_mul_i32 s15, s14, s1
	s_mov_b32 s21, s17
	s_add_i32 s23, s0, s15
	s_mul_i32 s22, s14, s17
	s_ashr_i32 s17, s16, 31
	s_waitcnt lgkmcnt(0)
	s_cmp_lg_u64 s[2:3], 0
	v_lshlrev_b64 v[3:4], 3, v[1:2]
	s_mul_i32 s14, s19, s18
	s_cselect_b32 s18, -1, 0
	s_lshl_b64 s[24:25], s[22:23], 3
	v_mad_u64_u32 v[6:7], null, s22, s16, v[1:2]
	s_add_u32 s0, s10, s24
	s_addc_u32 s10, s11, s25
	v_add_co_u32 v8, vcc_lo, s0, v3
	v_mov_b32_e32 v2, 0
	v_mov_b32_e32 v3, 0
	v_add_co_ci_u32_e32 v9, vcc_lo, s10, v4, vcc_lo
	s_mul_i32 s0, s22, s17
	s_mul_i32 s10, s23, s16
	s_delay_alu instid0(VALU_DEP_2)
	v_dual_mov_b32 v5, v3 :: v_dual_mov_b32 v4, v2
	v_add3_u32 v7, s0, s10, v7
	s_ashr_i32 s15, s14, 31
	s_mov_b32 s24, 0
	s_lshl_b64 s[10:11], s[14:15], 3
                                        ; implicit-def: $sgpr23
                                        ; implicit-def: $sgpr22
	s_branch .LBB6_9
.LBB6_8:                                ;   in Loop: Header=BB6_9 Depth=1
	s_or_b32 exec_lo, exec_lo, s25
	s_xor_b32 s25, s27, -1
	s_xor_b32 s26, s26, -1
	s_and_b32 s0, exec_lo, s0
	s_delay_alu instid0(SALU_CYCLE_1)
	s_or_b32 s24, s0, s24
	s_and_not1_b32 s0, s22, exec_lo
	s_and_b32 s22, s25, exec_lo
	s_and_not1_b32 s23, s23, exec_lo
	s_and_b32 s25, s26, exec_lo
	s_or_b32 s22, s0, s22
	s_or_b32 s23, s23, s25
	s_and_not1_b32 exec_lo, exec_lo, s24
	s_cbranch_execz .LBB6_20
.LBB6_9:                                ; =>This Inner Loop Header: Depth=1
	global_load_b64 v[10:11], v[8:9], off
	s_mov_b32 s28, -1
	s_mov_b32 s25, exec_lo
                                        ; implicit-def: $sgpr26
                                        ; implicit-def: $sgpr27
	s_waitcnt vmcnt(0)
	v_cmpx_ne_u64_e64 s[12:13], v[10:11]
	s_cbranch_execz .LBB6_18
; %bb.10:                               ;   in Loop: Header=BB6_9 Depth=1
	v_cmp_lt_i64_e32 vcc_lo, -1, v[10:11]
	v_cmp_gt_i64_e64 s0, s[16:17], v[10:11]
	s_mov_b32 s26, -1
	s_mov_b32 s28, 0
	s_mov_b32 s29, 0
	s_delay_alu instid0(VALU_DEP_1) | instskip(NEXT) | instid1(SALU_CYCLE_1)
	s_and_b32 s27, vcc_lo, s0
	s_and_saveexec_b32 s0, s27
	s_cbranch_execz .LBB6_17
; %bb.11:                               ;   in Loop: Header=BB6_9 Depth=1
	s_and_not1_b32 vcc_lo, exec_lo, s18
	s_cbranch_vccnz .LBB6_13
; %bb.12:                               ;   in Loop: Header=BB6_9 Depth=1
	v_lshlrev_b64 v[12:13], 3, v[10:11]
	s_delay_alu instid0(VALU_DEP_1) | instskip(NEXT) | instid1(VALU_DEP_2)
	v_add_co_u32 v12, vcc_lo, s2, v12
	v_add_co_ci_u32_e32 v13, vcc_lo, s3, v13, vcc_lo
	global_load_b64 v[12:13], v[12:13], off
	s_branch .LBB6_14
.LBB6_13:                               ;   in Loop: Header=BB6_9 Depth=1
	v_mov_b32_e32 v12, 0
	v_mov_b32_e32 v13, 0x3ff00000
.LBB6_14:                               ;   in Loop: Header=BB6_9 Depth=1
	v_mad_u64_u32 v[14:15], null, v10, s21, v[6:7]
	v_mul_lo_u32 v10, v10, s1
	v_mul_lo_u32 v11, v11, s21
	s_mov_b32 s27, 0
	s_mov_b32 s26, exec_lo
	s_delay_alu instid0(VALU_DEP_1) | instskip(NEXT) | instid1(VALU_DEP_1)
	v_add3_u32 v15, v11, v15, v10
	v_cmpx_lt_i64_e32 -1, v[14:15]
	s_cbranch_execz .LBB6_16
; %bb.15:                               ;   in Loop: Header=BB6_9 Depth=1
	v_lshlrev_b64 v[10:11], 3, v[14:15]
	s_waitcnt vmcnt(0)
	v_add_f64 v[4:5], v[4:5], v[12:13]
	s_mov_b32 s27, exec_lo
	s_delay_alu instid0(VALU_DEP_2) | instskip(NEXT) | instid1(VALU_DEP_3)
	v_add_co_u32 v10, vcc_lo, s8, v10
	v_add_co_ci_u32_e32 v11, vcc_lo, s9, v11, vcc_lo
	global_load_b64 v[10:11], v[10:11], off
	s_waitcnt vmcnt(0)
	v_fma_f64 v[2:3], -v[12:13], v[10:11], v[2:3]
.LBB6_16:                               ;   in Loop: Header=BB6_9 Depth=1
	s_or_b32 exec_lo, exec_lo, s26
	s_delay_alu instid0(SALU_CYCLE_1)
	s_mov_b32 s29, exec_lo
	s_xor_b32 s26, exec_lo, -1
	s_and_b32 s28, s27, exec_lo
.LBB6_17:                               ;   in Loop: Header=BB6_9 Depth=1
	s_or_b32 exec_lo, exec_lo, s0
	s_delay_alu instid0(SALU_CYCLE_1)
	s_and_b32 s27, s29, exec_lo
	s_and_b32 s26, s26, exec_lo
	s_or_not1_b32 s28, s28, exec_lo
.LBB6_18:                               ;   in Loop: Header=BB6_9 Depth=1
	s_or_b32 exec_lo, exec_lo, s25
	s_mov_b32 s0, -1
	s_and_saveexec_b32 s25, s28
	s_cbranch_execz .LBB6_8
; %bb.19:                               ;   in Loop: Header=BB6_9 Depth=1
	v_add_nc_u32_e32 v1, s14, v1
	v_add_co_u32 v8, vcc_lo, v8, s10
	v_add_co_ci_u32_e32 v9, vcc_lo, s11, v9, vcc_lo
	s_delay_alu instid0(VALU_DEP_3) | instskip(SKIP_1) | instid1(VALU_DEP_1)
	v_cmp_le_i32_e32 vcc_lo, s21, v1
	v_add_co_u32 v6, s0, v6, s14
	v_add_co_ci_u32_e64 v7, s0, s15, v7, s0
	s_and_not1_b32 s27, s27, exec_lo
	s_and_not1_b32 s26, s26, exec_lo
	s_or_not1_b32 s0, vcc_lo, exec_lo
	s_branch .LBB6_8
.LBB6_20:
	s_or_b32 exec_lo, exec_lo, s24
	v_mov_b32_e32 v6, 0
	v_mov_b32_e32 v7, 0
	s_mov_b32 s1, 0
	s_mov_b32 s3, -1
	s_mov_b32 s0, 0
	s_delay_alu instid0(VALU_DEP_1) | instskip(SKIP_1) | instid1(SALU_CYCLE_1)
	v_dual_mov_b32 v9, v7 :: v_dual_mov_b32 v8, v6
	s_and_saveexec_b32 s2, s23
	s_xor_b32 s2, exec_lo, s2
; %bb.21:
	s_delay_alu instid0(VALU_DEP_4)
	v_dual_mov_b32 v7, v3 :: v_dual_mov_b32 v6, v2
	v_dual_mov_b32 v9, v5 :: v_dual_mov_b32 v8, v4
	s_mov_b32 s0, exec_lo
	s_xor_b32 s3, exec_lo, -1
	s_and_b32 s1, s22, exec_lo
; %bb.22:
	s_or_b32 exec_lo, exec_lo, s2
	s_delay_alu instid0(SALU_CYCLE_1) | instskip(SKIP_4) | instid1(SALU_CYCLE_1)
	s_and_b32 s12, s3, exec_lo
	s_and_b32 s13, s0, exec_lo
	s_or_not1_b32 s15, s1, exec_lo
	s_or_b32 exec_lo, exec_lo, s20
	s_and_saveexec_b32 s0, s15
	s_xor_b32 s2, exec_lo, s0
	s_cbranch_execz .LBB6_2
.LBB6_23:
	v_mbcnt_lo_u32_b32 v5, -1, 0
	s_waitcnt vmcnt(0)
	v_and_b32_e32 v13, 31, v0
	s_barrier
	buffer_gl0_inv
	v_cmp_gt_u32_e32 vcc_lo, 16, v5
	v_cndmask_b32_e64 v1, 0, 1, vcc_lo
	v_cmp_gt_u32_e32 vcc_lo, 24, v5
	s_delay_alu instid0(VALU_DEP_2) | instskip(SKIP_2) | instid1(VALU_DEP_3)
	v_lshlrev_b32_e32 v1, 4, v1
	v_cndmask_b32_e64 v3, 0, 1, vcc_lo
	v_cmp_gt_u32_e32 vcc_lo, 28, v5
	v_add_lshl_u32 v10, v1, v5, 2
	s_delay_alu instid0(VALU_DEP_3)
	v_lshlrev_b32_e32 v3, 3, v3
	ds_bpermute_b32 v1, v10, v8
	ds_bpermute_b32 v2, v10, v9
	s_waitcnt lgkmcnt(0)
	v_add_f64 v[1:2], v[8:9], v[1:2]
	v_add_lshl_u32 v8, v3, v5, 2
	ds_bpermute_b32 v3, v8, v1
	ds_bpermute_b32 v4, v8, v2
	s_waitcnt lgkmcnt(0)
	v_add_f64 v[1:2], v[1:2], v[3:4]
	v_cndmask_b32_e64 v3, 0, 1, vcc_lo
	v_cmp_gt_u32_e32 vcc_lo, 30, v5
	s_delay_alu instid0(VALU_DEP_2) | instskip(NEXT) | instid1(VALU_DEP_1)
	v_lshlrev_b32_e32 v3, 2, v3
	v_add_lshl_u32 v9, v3, v5, 2
	ds_bpermute_b32 v3, v9, v1
	ds_bpermute_b32 v4, v9, v2
	s_waitcnt lgkmcnt(0)
	v_add_f64 v[1:2], v[1:2], v[3:4]
	v_cndmask_b32_e64 v3, 0, 1, vcc_lo
	v_cmp_ne_u32_e32 vcc_lo, 31, v5
	s_delay_alu instid0(VALU_DEP_2) | instskip(NEXT) | instid1(VALU_DEP_1)
	v_lshlrev_b32_e32 v3, 1, v3
	v_add_lshl_u32 v11, v3, v5, 2
	ds_bpermute_b32 v3, v11, v1
	ds_bpermute_b32 v4, v11, v2
	s_waitcnt lgkmcnt(0)
	v_add_f64 v[1:2], v[1:2], v[3:4]
	v_add_co_ci_u32_e32 v3, vcc_lo, 0, v5, vcc_lo
	v_cmp_eq_u32_e32 vcc_lo, 0, v13
	s_delay_alu instid0(VALU_DEP_2)
	v_lshlrev_b32_e32 v12, 2, v3
	ds_bpermute_b32 v3, v12, v1
	ds_bpermute_b32 v4, v12, v2
	s_and_saveexec_b32 s0, vcc_lo
	s_cbranch_execz .LBB6_25
; %bb.24:
	s_waitcnt lgkmcnt(0)
	v_add_f64 v[1:2], v[1:2], v[3:4]
	v_lshrrev_b32_e32 v3, 2, v0
	ds_store_b64 v3, v[1:2] offset:8192
.LBB6_25:
	s_or_b32 exec_lo, exec_lo, s0
	s_lshr_b32 s0, s19, 5
	v_mov_b32_e32 v1, 0
	v_mov_b32_e32 v2, 0
	v_cmp_gt_u32_e64 s0, s0, v0
	s_waitcnt lgkmcnt(0)
	s_barrier
	buffer_gl0_inv
	s_and_saveexec_b32 s1, s0
	s_cbranch_execz .LBB6_27
; %bb.26:
	v_lshlrev_b32_e32 v1, 3, v13
	ds_load_b64 v[1:2], v1 offset:8192
.LBB6_27:
	s_or_b32 exec_lo, exec_lo, s1
	v_cmp_gt_u32_e64 s1, 32, v0
	s_delay_alu instid0(VALU_DEP_1)
	s_and_saveexec_b32 s3, s1
	s_cbranch_execz .LBB6_29
; %bb.28:
	s_waitcnt lgkmcnt(0)
	ds_bpermute_b32 v3, v10, v1
	ds_bpermute_b32 v4, v10, v2
	s_waitcnt lgkmcnt(0)
	v_add_f64 v[1:2], v[1:2], v[3:4]
	ds_bpermute_b32 v3, v8, v1
	ds_bpermute_b32 v4, v8, v2
	s_waitcnt lgkmcnt(0)
	v_add_f64 v[1:2], v[1:2], v[3:4]
	;; [unrolled: 4-line block ×5, first 2 shown]
.LBB6_29:
	s_or_b32 exec_lo, exec_lo, s3
	ds_bpermute_b32 v3, v10, v6
	ds_bpermute_b32 v4, v10, v7
	s_waitcnt lgkmcnt(0)
	s_barrier
	buffer_gl0_inv
	v_add_f64 v[3:4], v[6:7], v[3:4]
	ds_bpermute_b32 v5, v8, v3
	ds_bpermute_b32 v6, v8, v4
	s_waitcnt lgkmcnt(0)
	v_add_f64 v[3:4], v[3:4], v[5:6]
	ds_bpermute_b32 v5, v9, v3
	ds_bpermute_b32 v6, v9, v4
	s_waitcnt lgkmcnt(0)
	;; [unrolled: 4-line block ×3, first 2 shown]
	v_add_f64 v[3:4], v[3:4], v[5:6]
	ds_bpermute_b32 v5, v12, v3
	ds_bpermute_b32 v6, v12, v4
	s_and_saveexec_b32 s3, vcc_lo
	s_cbranch_execz .LBB6_31
; %bb.30:
	s_waitcnt lgkmcnt(0)
	v_add_f64 v[3:4], v[3:4], v[5:6]
	v_lshrrev_b32_e32 v5, 2, v0
	ds_store_b64 v5, v[3:4]
.LBB6_31:
	s_or_b32 exec_lo, exec_lo, s3
	s_waitcnt lgkmcnt(1)
	v_mov_b32_e32 v4, 0
	v_mov_b32_e32 v5, 0
	s_waitcnt lgkmcnt(0)
	s_barrier
	buffer_gl0_inv
	s_and_saveexec_b32 s3, s0
	s_cbranch_execz .LBB6_33
; %bb.32:
	v_lshlrev_b32_e32 v3, 3, v13
	ds_load_b64 v[4:5], v3
.LBB6_33:
	s_or_b32 exec_lo, exec_lo, s3
	s_and_saveexec_b32 s0, s1
	s_cbranch_execz .LBB6_35
; %bb.34:
	s_waitcnt lgkmcnt(0)
	ds_bpermute_b32 v6, v10, v4
	ds_bpermute_b32 v7, v10, v5
	s_waitcnt lgkmcnt(0)
	v_add_f64 v[3:4], v[4:5], v[6:7]
	ds_bpermute_b32 v5, v8, v3
	ds_bpermute_b32 v6, v8, v4
	s_waitcnt lgkmcnt(0)
	v_add_f64 v[3:4], v[3:4], v[5:6]
	ds_bpermute_b32 v5, v9, v3
	ds_bpermute_b32 v6, v9, v4
	s_waitcnt lgkmcnt(0)
	v_add_f64 v[3:4], v[3:4], v[5:6]
	ds_bpermute_b32 v5, v11, v3
	ds_bpermute_b32 v6, v11, v4
	s_waitcnt lgkmcnt(0)
	v_add_f64 v[3:4], v[3:4], v[5:6]
	ds_bpermute_b32 v5, v12, v3
	ds_bpermute_b32 v6, v12, v4
	s_waitcnt lgkmcnt(0)
	v_add_f64 v[4:5], v[3:4], v[5:6]
.LBB6_35:
	s_or_b32 exec_lo, exec_lo, s0
	s_delay_alu instid0(SALU_CYCLE_1)
	s_mov_b32 s0, exec_lo
	v_cmpx_eq_u32_e32 0, v0
	s_cbranch_execz .LBB6_48
; %bb.36:
	v_mov_b32_e32 v6, 0
	v_bfrev_b32_e32 v7, 1
	s_mov_b32 s1, exec_lo
.LBB6_37:                               ; =>This Inner Loop Header: Depth=1
	s_delay_alu instid0(SALU_CYCLE_1) | instskip(NEXT) | instid1(SALU_CYCLE_1)
	s_ctz_i32_b32 s3, s1
	v_readlane_b32 s9, v2, s3
	v_readlane_b32 s8, v1, s3
	s_lshl_b32 s3, 1, s3
	s_delay_alu instid0(SALU_CYCLE_1) | instskip(NEXT) | instid1(VALU_DEP_1)
	s_and_not1_b32 s1, s1, s3
	v_add_f64 v[6:7], v[6:7], s[8:9]
	s_cmp_lg_u32 s1, 0
	s_cbranch_scc1 .LBB6_37
; %bb.38:
	v_mbcnt_lo_u32_b32 v0, exec_lo, 0
	s_mov_b32 s3, 0
	s_mov_b32 s1, exec_lo
	s_delay_alu instid0(VALU_DEP_1)
	v_cmpx_eq_u32_e32 0, v0
	s_xor_b32 s1, exec_lo, s1
	s_cbranch_execz .LBB6_42
; %bb.39:
	s_load_b64 s[8:9], s[6:7], 0x0
	v_mov_b32_e32 v8, 0
	s_waitcnt lgkmcnt(0)
	v_dual_mov_b32 v2, s8 :: v_dual_mov_b32 v3, s9
.LBB6_40:                               ; =>This Inner Loop Header: Depth=1
	s_delay_alu instid0(VALU_DEP_1)
	v_add_f64 v[0:1], v[2:3], v[6:7]
	global_atomic_cmpswap_b64 v[0:1], v8, v[0:3], s[6:7] glc
	s_waitcnt vmcnt(0)
	v_cmp_eq_u64_e32 vcc_lo, v[0:1], v[2:3]
	v_dual_mov_b32 v3, v1 :: v_dual_mov_b32 v2, v0
	s_or_b32 s3, vcc_lo, s3
	s_delay_alu instid0(SALU_CYCLE_1)
	s_and_not1_b32 exec_lo, exec_lo, s3
	s_cbranch_execnz .LBB6_40
; %bb.41:
	s_or_b32 exec_lo, exec_lo, s3
.LBB6_42:
	s_delay_alu instid0(SALU_CYCLE_1)
	s_or_b32 exec_lo, exec_lo, s1
	v_mov_b32_e32 v6, 0
	v_bfrev_b32_e32 v7, 1
	s_mov_b32 s1, exec_lo
.LBB6_43:                               ; =>This Inner Loop Header: Depth=1
	s_delay_alu instid0(SALU_CYCLE_1) | instskip(SKIP_4) | instid1(SALU_CYCLE_1)
	s_ctz_i32_b32 s3, s1
	s_waitcnt lgkmcnt(0)
	v_readlane_b32 s7, v5, s3
	v_readlane_b32 s6, v4, s3
	s_lshl_b32 s3, 1, s3
	s_and_not1_b32 s1, s1, s3
	s_delay_alu instid0(VALU_DEP_1)
	v_add_f64 v[6:7], v[6:7], s[6:7]
	s_cmp_lg_u32 s1, 0
	s_cbranch_scc1 .LBB6_43
; %bb.44:
	v_mbcnt_lo_u32_b32 v0, exec_lo, 0
	s_mov_b32 s1, 0
	s_mov_b32 s3, exec_lo
	s_delay_alu instid0(VALU_DEP_1)
	v_cmpx_eq_u32_e32 0, v0
	s_xor_b32 s3, exec_lo, s3
	s_cbranch_execz .LBB6_48
; %bb.45:
	v_mov_b32_e32 v4, 0
	global_load_b64 v[2:3], v4, s[4:5]
.LBB6_46:                               ; =>This Inner Loop Header: Depth=1
	s_waitcnt vmcnt(0)
	v_add_f64 v[0:1], v[2:3], v[6:7]
	global_atomic_cmpswap_b64 v[0:1], v4, v[0:3], s[4:5] glc
	s_waitcnt vmcnt(0)
	v_cmp_eq_u64_e32 vcc_lo, v[0:1], v[2:3]
	v_dual_mov_b32 v3, v1 :: v_dual_mov_b32 v2, v0
	s_or_b32 s1, vcc_lo, s1
	s_delay_alu instid0(SALU_CYCLE_1)
	s_and_not1_b32 exec_lo, exec_lo, s1
	s_cbranch_execnz .LBB6_46
; %bb.47:
	s_or_b32 exec_lo, exec_lo, s1
.LBB6_48:
	s_delay_alu instid0(SALU_CYCLE_1) | instskip(NEXT) | instid1(SALU_CYCLE_1)
	s_or_b32 exec_lo, exec_lo, s0
	s_and_not1_b32 s13, s13, exec_lo
	s_or_b32 exec_lo, exec_lo, s2
	s_mov_b32 s0, 0
	s_and_saveexec_b32 s1, s13
	s_cbranch_execz .LBB6_3
.LBB6_49:
	s_cbranch_execnz .LBB6_53
; %bb.50:
	s_mov_b32 s0, exec_lo
	s_or_b32 exec_lo, exec_lo, s1
	s_and_saveexec_b32 s1, s12
	s_cbranch_execz .LBB6_4
.LBB6_51:
	s_cbranch_execnz .LBB6_55
; %bb.52:
	s_or_b32 s0, s0, exec_lo
	s_or_b32 exec_lo, exec_lo, s1
	s_and_saveexec_b32 s1, s0
	s_cbranch_execnz .LBB6_5
	s_branch .LBB6_6
.LBB6_53:
	s_trap 2
	s_sendmsg_rtn_b32 s0, sendmsg(MSG_RTN_GET_DOORBELL)
	s_mov_b32 ttmp2, m0
	s_waitcnt lgkmcnt(0)
	s_and_b32 s0, s0, 0x3ff
	s_delay_alu instid0(SALU_CYCLE_1) | instskip(NEXT) | instid1(SALU_CYCLE_1)
	s_bitset1_b32 s0, 10
	s_mov_b32 m0, s0
	s_sendmsg sendmsg(MSG_INTERRUPT)
	s_mov_b32 m0, ttmp2
.LBB6_54:                               ; =>This Inner Loop Header: Depth=1
	s_sethalt 5
	s_branch .LBB6_54
.LBB6_55:
	s_trap 2
	s_sendmsg_rtn_b32 s0, sendmsg(MSG_RTN_GET_DOORBELL)
	s_mov_b32 ttmp2, m0
	s_waitcnt lgkmcnt(0)
	s_and_b32 s0, s0, 0x3ff
	s_delay_alu instid0(SALU_CYCLE_1) | instskip(NEXT) | instid1(SALU_CYCLE_1)
	s_bitset1_b32 s0, 10
	s_mov_b32 m0, s0
	s_sendmsg sendmsg(MSG_INTERRUPT)
	s_mov_b32 m0, ttmp2
.LBB6_56:                               ; =>This Inner Loop Header: Depth=1
	s_sethalt 5
	s_branch .LBB6_56
	.section	.rodata,"a",@progbits
	.p2align	6, 0x0
	.amdhsa_kernel _ZN2at6native12_GLOBAL__N_125nll_loss2d_forward_kernelIddlEEvPT_S4_PKS3_PKlS6_iiil
		.amdhsa_group_segment_fixed_size 16384
		.amdhsa_private_segment_fixed_size 0
		.amdhsa_kernarg_size 320
		.amdhsa_user_sgpr_count 15
		.amdhsa_user_sgpr_dispatch_ptr 0
		.amdhsa_user_sgpr_queue_ptr 0
		.amdhsa_user_sgpr_kernarg_segment_ptr 1
		.amdhsa_user_sgpr_dispatch_id 0
		.amdhsa_user_sgpr_private_segment_size 0
		.amdhsa_wavefront_size32 1
		.amdhsa_uses_dynamic_stack 0
		.amdhsa_enable_private_segment 0
		.amdhsa_system_sgpr_workgroup_id_x 1
		.amdhsa_system_sgpr_workgroup_id_y 0
		.amdhsa_system_sgpr_workgroup_id_z 0
		.amdhsa_system_sgpr_workgroup_info 0
		.amdhsa_system_vgpr_workitem_id 0
		.amdhsa_next_free_vgpr 16
		.amdhsa_next_free_sgpr 30
		.amdhsa_reserve_vcc 1
		.amdhsa_float_round_mode_32 0
		.amdhsa_float_round_mode_16_64 0
		.amdhsa_float_denorm_mode_32 3
		.amdhsa_float_denorm_mode_16_64 3
		.amdhsa_dx10_clamp 1
		.amdhsa_ieee_mode 1
		.amdhsa_fp16_overflow 0
		.amdhsa_workgroup_processor_mode 1
		.amdhsa_memory_ordered 1
		.amdhsa_forward_progress 0
		.amdhsa_shared_vgpr_count 0
		.amdhsa_exception_fp_ieee_invalid_op 0
		.amdhsa_exception_fp_denorm_src 0
		.amdhsa_exception_fp_ieee_div_zero 0
		.amdhsa_exception_fp_ieee_overflow 0
		.amdhsa_exception_fp_ieee_underflow 0
		.amdhsa_exception_fp_ieee_inexact 0
		.amdhsa_exception_int_div_zero 0
	.end_amdhsa_kernel
	.section	.text._ZN2at6native12_GLOBAL__N_125nll_loss2d_forward_kernelIddlEEvPT_S4_PKS3_PKlS6_iiil,"axG",@progbits,_ZN2at6native12_GLOBAL__N_125nll_loss2d_forward_kernelIddlEEvPT_S4_PKS3_PKlS6_iiil,comdat
.Lfunc_end6:
	.size	_ZN2at6native12_GLOBAL__N_125nll_loss2d_forward_kernelIddlEEvPT_S4_PKS3_PKlS6_iiil, .Lfunc_end6-_ZN2at6native12_GLOBAL__N_125nll_loss2d_forward_kernelIddlEEvPT_S4_PKS3_PKlS6_iiil
                                        ; -- End function
	.section	.AMDGPU.csdata,"",@progbits
; Kernel info:
; codeLenInByte = 2428
; NumSgprs: 32
; NumVgprs: 16
; ScratchSize: 0
; MemoryBound: 0
; FloatMode: 240
; IeeeMode: 1
; LDSByteSize: 16384 bytes/workgroup (compile time only)
; SGPRBlocks: 3
; VGPRBlocks: 1
; NumSGPRsForWavesPerEU: 32
; NumVGPRsForWavesPerEU: 16
; Occupancy: 16
; WaveLimiterHint : 1
; COMPUTE_PGM_RSRC2:SCRATCH_EN: 0
; COMPUTE_PGM_RSRC2:USER_SGPR: 15
; COMPUTE_PGM_RSRC2:TRAP_HANDLER: 0
; COMPUTE_PGM_RSRC2:TGID_X_EN: 1
; COMPUTE_PGM_RSRC2:TGID_Y_EN: 0
; COMPUTE_PGM_RSRC2:TGID_Z_EN: 0
; COMPUTE_PGM_RSRC2:TIDIG_COMP_CNT: 0
	.section	.text._ZN2at6native12_GLOBAL__N_125nll_loss2d_forward_kernelIffiEEvPT_S4_PKS3_PKlS6_iiil,"axG",@progbits,_ZN2at6native12_GLOBAL__N_125nll_loss2d_forward_kernelIffiEEvPT_S4_PKS3_PKlS6_iiil,comdat
	.globl	_ZN2at6native12_GLOBAL__N_125nll_loss2d_forward_kernelIffiEEvPT_S4_PKS3_PKlS6_iiil ; -- Begin function _ZN2at6native12_GLOBAL__N_125nll_loss2d_forward_kernelIffiEEvPT_S4_PKS3_PKlS6_iiil
	.p2align	8
	.type	_ZN2at6native12_GLOBAL__N_125nll_loss2d_forward_kernelIffiEEvPT_S4_PKS3_PKlS6_iiil,@function
_ZN2at6native12_GLOBAL__N_125nll_loss2d_forward_kernelIffiEEvPT_S4_PKS3_PKlS6_iiil: ; @_ZN2at6native12_GLOBAL__N_125nll_loss2d_forward_kernelIffiEEvPT_S4_PKS3_PKlS6_iiil
; %bb.0:
	s_clause 0x1
	s_load_b128 s[16:19], s[0:1], 0x28
	s_load_b32 s12, s[0:1], 0x4c
	s_mov_b32 s21, -1
	s_mov_b32 s20, exec_lo
	v_mov_b32_e32 v4, 0
	s_waitcnt lgkmcnt(0)
	v_cvt_f32_u32_e32 v1, s18
	s_sub_i32 s3, 0, s18
	s_delay_alu instid0(VALU_DEP_1) | instskip(SKIP_2) | instid1(VALU_DEP_1)
	v_rcp_iflag_f32_e32 v1, v1
	s_waitcnt_depctr 0xfff
	v_mul_f32_e32 v1, 0x4f7ffffe, v1
	v_cvt_u32_f32_e32 v1, v1
	s_delay_alu instid0(VALU_DEP_1) | instskip(SKIP_1) | instid1(VALU_DEP_2)
	v_readfirstlane_b32 s2, v1
	v_mov_b32_e32 v1, 0
	s_mul_i32 s3, s3, s2
	s_delay_alu instid0(SALU_CYCLE_1) | instskip(NEXT) | instid1(SALU_CYCLE_1)
	s_mul_hi_u32 s3, s2, s3
	s_add_i32 s2, s2, s3
	s_delay_alu instid0(SALU_CYCLE_1) | instskip(NEXT) | instid1(SALU_CYCLE_1)
	s_mul_hi_u32 s4, s15, s2
	s_mul_i32 s2, s4, s18
	s_add_i32 s6, s4, 1
	s_sub_i32 s5, s15, s2
	s_load_b64 s[2:3], s[0:1], 0x20
	s_sub_i32 s7, s5, s18
	s_cmp_ge_u32 s5, s18
	s_cselect_b32 s13, s6, s4
	s_cselect_b32 s4, s7, s5
	s_add_i32 s14, s13, 1
	s_cmp_ge_u32 s4, s18
	s_load_b256 s[4:11], s[0:1], 0x0
	s_cselect_b32 s14, s14, s13
	s_and_b32 s19, s12, 0xffff
	s_mul_i32 s13, s14, s18
	s_mov_b32 s12, 0
	s_sub_i32 s15, s15, s13
	s_mov_b32 s13, 0
	s_mul_i32 s15, s15, s19
	s_delay_alu instid0(SALU_CYCLE_1) | instskip(NEXT) | instid1(VALU_DEP_1)
	v_add_nc_u32_e32 v7, s15, v0
	v_cmpx_gt_i32_e64 s17, v7
	s_cbranch_execnz .LBB7_7
; %bb.1:
	s_or_b32 exec_lo, exec_lo, s20
	s_and_saveexec_b32 s0, s21
	s_waitcnt lgkmcnt(0)
	s_xor_b32 s2, exec_lo, s0
	s_cbranch_execnz .LBB7_23
.LBB7_2:
	s_or_b32 exec_lo, exec_lo, s2
	s_mov_b32 s0, 0
	s_and_saveexec_b32 s1, s13
	s_cbranch_execnz .LBB7_49
.LBB7_3:
	s_or_b32 exec_lo, exec_lo, s1
	s_and_saveexec_b32 s1, s12
	s_cbranch_execnz .LBB7_51
.LBB7_4:
	s_or_b32 exec_lo, exec_lo, s1
	s_and_saveexec_b32 s1, s0
.LBB7_5:
	; divergent unreachable
.LBB7_6:
	s_endpgm
.LBB7_7:
	s_mul_i32 s21, s14, s17
	s_load_b64 s[12:13], s[0:1], 0x38
	v_add3_u32 v1, s15, s21, v0
	s_mul_i32 s14, s19, s18
	s_waitcnt lgkmcnt(0)
	s_cmp_lg_u64 s[2:3], 0
	v_dual_mov_b32 v8, 0 :: v_dual_mov_b32 v9, 0
	v_ashrrev_i32_e32 v2, 31, v1
	s_cselect_b32 s18, -1, 0
	s_ashr_i32 s15, s14, 31
	s_mul_i32 s21, s21, s16
	s_mov_b32 s22, 0
	v_lshlrev_b64 v[3:4], 3, v[1:2]
	v_mov_b32_e32 v2, 0
                                        ; implicit-def: $sgpr1
	s_delay_alu instid0(VALU_DEP_2) | instskip(NEXT) | instid1(VALU_DEP_3)
	v_add_co_u32 v3, vcc_lo, s10, v3
	v_add_co_ci_u32_e32 v4, vcc_lo, s11, v4, vcc_lo
	s_lshl_b64 s[10:11], s[14:15], 3
                                        ; implicit-def: $sgpr15
	s_branch .LBB7_9
.LBB7_8:                                ;   in Loop: Header=BB7_9 Depth=1
	s_or_b32 exec_lo, exec_lo, s23
	s_xor_b32 s23, s25, -1
	s_xor_b32 s24, s24, -1
	s_and_b32 s0, exec_lo, s0
	s_delay_alu instid0(SALU_CYCLE_1)
	s_or_b32 s22, s0, s22
	s_and_not1_b32 s0, s1, exec_lo
	s_and_b32 s1, s23, exec_lo
	s_and_not1_b32 s15, s15, exec_lo
	s_and_b32 s23, s24, exec_lo
	s_or_b32 s1, s0, s1
	s_or_b32 s15, s15, s23
	s_and_not1_b32 exec_lo, exec_lo, s22
	s_cbranch_execz .LBB7_20
.LBB7_9:                                ; =>This Inner Loop Header: Depth=1
	global_load_b64 v[5:6], v[3:4], off
	s_mov_b32 s26, -1
	s_mov_b32 s23, exec_lo
                                        ; implicit-def: $sgpr24
                                        ; implicit-def: $sgpr25
	s_waitcnt vmcnt(0)
	v_ashrrev_i32_e32 v6, 31, v5
	s_delay_alu instid0(VALU_DEP_1)
	v_cmpx_ne_u64_e64 s[12:13], v[5:6]
	s_cbranch_execz .LBB7_18
; %bb.10:                               ;   in Loop: Header=BB7_9 Depth=1
	v_cmp_lt_i32_e32 vcc_lo, -1, v5
	v_cmp_gt_i32_e64 s0, s16, v5
	s_mov_b32 s27, -1
	s_mov_b32 s26, 0
	s_mov_b32 s25, 0
	s_delay_alu instid0(VALU_DEP_1) | instskip(NEXT) | instid1(SALU_CYCLE_1)
	s_and_b32 s24, vcc_lo, s0
	s_and_saveexec_b32 s0, s24
	s_cbranch_execz .LBB7_17
; %bb.11:                               ;   in Loop: Header=BB7_9 Depth=1
	s_and_not1_b32 vcc_lo, exec_lo, s18
	s_cbranch_vccnz .LBB7_13
; %bb.12:                               ;   in Loop: Header=BB7_9 Depth=1
	v_lshlrev_b64 v[10:11], 2, v[5:6]
	s_delay_alu instid0(VALU_DEP_1) | instskip(NEXT) | instid1(VALU_DEP_2)
	v_add_co_u32 v10, vcc_lo, s2, v10
	v_add_co_ci_u32_e32 v11, vcc_lo, s3, v11, vcc_lo
	global_load_b32 v6, v[10:11], off
	s_branch .LBB7_14
.LBB7_13:                               ;   in Loop: Header=BB7_9 Depth=1
	v_mov_b32_e32 v6, 1.0
.LBB7_14:                               ;   in Loop: Header=BB7_9 Depth=1
	v_mul_lo_u32 v1, v5, s17
	s_mov_b32 s24, 0
	s_mov_b32 s25, exec_lo
	s_delay_alu instid0(VALU_DEP_1) | instskip(NEXT) | instid1(VALU_DEP_1)
	v_add3_u32 v1, s21, v7, v1
	v_cmpx_lt_i32_e32 -1, v1
	s_cbranch_execz .LBB7_16
; %bb.15:                               ;   in Loop: Header=BB7_9 Depth=1
	v_lshlrev_b64 v[10:11], 2, v[1:2]
	s_waitcnt vmcnt(0)
	v_add_f32_e32 v9, v9, v6
	s_mov_b32 s24, exec_lo
	s_delay_alu instid0(VALU_DEP_2) | instskip(NEXT) | instid1(VALU_DEP_3)
	v_add_co_u32 v10, vcc_lo, s8, v10
	v_add_co_ci_u32_e32 v11, vcc_lo, s9, v11, vcc_lo
	global_load_b32 v1, v[10:11], off
	s_waitcnt vmcnt(0)
	v_fma_f32 v8, -v6, v1, v8
.LBB7_16:                               ;   in Loop: Header=BB7_9 Depth=1
	s_or_b32 exec_lo, exec_lo, s25
	s_delay_alu instid0(SALU_CYCLE_1)
	s_mov_b32 s25, exec_lo
	s_xor_b32 s27, exec_lo, -1
	s_and_b32 s26, s24, exec_lo
.LBB7_17:                               ;   in Loop: Header=BB7_9 Depth=1
	s_or_b32 exec_lo, exec_lo, s0
	s_delay_alu instid0(SALU_CYCLE_1)
	s_and_b32 s25, s25, exec_lo
	s_and_b32 s24, s27, exec_lo
	s_or_not1_b32 s26, s26, exec_lo
.LBB7_18:                               ;   in Loop: Header=BB7_9 Depth=1
	s_or_b32 exec_lo, exec_lo, s23
	s_mov_b32 s0, -1
	s_and_saveexec_b32 s23, s26
	s_cbranch_execz .LBB7_8
; %bb.19:                               ;   in Loop: Header=BB7_9 Depth=1
	v_add_nc_u32_e32 v7, s14, v7
	v_add_co_u32 v3, s0, v3, s10
	s_delay_alu instid0(VALU_DEP_1) | instskip(NEXT) | instid1(VALU_DEP_3)
	v_add_co_ci_u32_e64 v4, s0, s11, v4, s0
	v_cmp_le_i32_e32 vcc_lo, s17, v7
	s_and_not1_b32 s25, s25, exec_lo
	s_and_not1_b32 s24, s24, exec_lo
	s_or_not1_b32 s0, vcc_lo, exec_lo
	s_branch .LBB7_8
.LBB7_20:
	s_or_b32 exec_lo, exec_lo, s22
	v_dual_mov_b32 v1, 0 :: v_dual_mov_b32 v4, 0
	s_mov_b32 s2, 0
	s_mov_b32 s8, -1
	s_mov_b32 s0, 0
	s_and_saveexec_b32 s3, s15
	s_delay_alu instid0(SALU_CYCLE_1)
	s_xor_b32 s3, exec_lo, s3
; %bb.21:
	v_dual_mov_b32 v1, v8 :: v_dual_mov_b32 v4, v9
	s_mov_b32 s0, exec_lo
	s_xor_b32 s8, exec_lo, -1
	s_and_b32 s2, s1, exec_lo
; %bb.22:
	s_or_b32 exec_lo, exec_lo, s3
	s_delay_alu instid0(SALU_CYCLE_1) | instskip(SKIP_4) | instid1(SALU_CYCLE_1)
	s_and_b32 s12, s8, exec_lo
	s_and_b32 s13, s0, exec_lo
	s_or_not1_b32 s21, s2, exec_lo
	s_or_b32 exec_lo, exec_lo, s20
	s_and_saveexec_b32 s0, s21
	s_xor_b32 s2, exec_lo, s0
	s_cbranch_execz .LBB7_2
.LBB7_23:
	s_waitcnt vmcnt(0)
	v_mbcnt_lo_u32_b32 v6, -1, 0
	v_and_b32_e32 v9, 31, v0
	s_barrier
	buffer_gl0_inv
	v_cmp_gt_u32_e32 vcc_lo, 16, v6
	v_cndmask_b32_e64 v2, 0, 1, vcc_lo
	v_cmp_gt_u32_e32 vcc_lo, 24, v6
	s_delay_alu instid0(VALU_DEP_2) | instskip(SKIP_2) | instid1(VALU_DEP_3)
	v_lshlrev_b32_e32 v2, 4, v2
	v_cndmask_b32_e64 v3, 0, 1, vcc_lo
	v_cmp_gt_u32_e32 vcc_lo, 28, v6
	v_add_lshl_u32 v2, v2, v6, 2
	s_delay_alu instid0(VALU_DEP_3)
	v_lshlrev_b32_e32 v3, 3, v3
	ds_bpermute_b32 v5, v2, v4
	v_add_lshl_u32 v3, v3, v6, 2
	s_waitcnt lgkmcnt(0)
	v_add_f32_e32 v5, v4, v5
	v_cndmask_b32_e64 v4, 0, 1, vcc_lo
	v_cmp_gt_u32_e32 vcc_lo, 30, v6
	ds_bpermute_b32 v7, v3, v5
	s_waitcnt lgkmcnt(0)
	v_dual_add_f32 v7, v5, v7 :: v_dual_lshlrev_b32 v4, 2, v4
	s_delay_alu instid0(VALU_DEP_1) | instskip(SKIP_4) | instid1(VALU_DEP_1)
	v_add_lshl_u32 v4, v4, v6, 2
	v_cndmask_b32_e64 v5, 0, 1, vcc_lo
	v_cmp_ne_u32_e32 vcc_lo, 31, v6
	ds_bpermute_b32 v8, v4, v7
	v_lshlrev_b32_e32 v5, 1, v5
	v_add_lshl_u32 v5, v5, v6, 2
	v_add_co_ci_u32_e32 v6, vcc_lo, 0, v6, vcc_lo
	v_cmp_eq_u32_e32 vcc_lo, 0, v9
	s_waitcnt lgkmcnt(0)
	s_delay_alu instid0(VALU_DEP_2)
	v_dual_add_f32 v7, v7, v8 :: v_dual_lshlrev_b32 v6, 2, v6
	ds_bpermute_b32 v8, v5, v7
	s_waitcnt lgkmcnt(0)
	v_add_f32_e32 v7, v7, v8
	ds_bpermute_b32 v8, v6, v7
	s_and_saveexec_b32 s0, vcc_lo
	s_cbranch_execz .LBB7_25
; %bb.24:
	s_waitcnt lgkmcnt(0)
	v_add_f32_e32 v7, v7, v8
	v_lshrrev_b32_e32 v8, 3, v0
	ds_store_b32 v8, v7 offset:4096
.LBB7_25:
	s_or_b32 exec_lo, exec_lo, s0
	s_lshr_b32 s0, s19, 5
	v_mov_b32_e32 v7, 0
	v_cmp_gt_u32_e64 s0, s0, v0
	s_waitcnt lgkmcnt(0)
	s_barrier
	buffer_gl0_inv
	s_and_saveexec_b32 s1, s0
	s_cbranch_execz .LBB7_27
; %bb.26:
	v_lshlrev_b32_e32 v7, 2, v9
	ds_load_b32 v7, v7 offset:4096
.LBB7_27:
	s_or_b32 exec_lo, exec_lo, s1
	v_cmp_gt_u32_e64 s1, 32, v0
	s_delay_alu instid0(VALU_DEP_1)
	s_and_saveexec_b32 s3, s1
	s_cbranch_execz .LBB7_29
; %bb.28:
	s_waitcnt lgkmcnt(0)
	ds_bpermute_b32 v8, v2, v7
	s_waitcnt lgkmcnt(0)
	v_add_f32_e32 v7, v7, v8
	ds_bpermute_b32 v8, v3, v7
	s_waitcnt lgkmcnt(0)
	v_add_f32_e32 v7, v7, v8
	;; [unrolled: 3-line block ×5, first 2 shown]
.LBB7_29:
	s_or_b32 exec_lo, exec_lo, s3
	ds_bpermute_b32 v8, v2, v1
	s_waitcnt lgkmcnt(0)
	s_barrier
	buffer_gl0_inv
	v_add_f32_e32 v1, v1, v8
	ds_bpermute_b32 v8, v3, v1
	s_waitcnt lgkmcnt(0)
	v_add_f32_e32 v1, v1, v8
	ds_bpermute_b32 v8, v4, v1
	s_waitcnt lgkmcnt(0)
	v_add_f32_e32 v1, v1, v8
	ds_bpermute_b32 v8, v5, v1
	s_waitcnt lgkmcnt(0)
	v_add_f32_e32 v1, v1, v8
	ds_bpermute_b32 v8, v6, v1
	s_and_saveexec_b32 s3, vcc_lo
	s_cbranch_execz .LBB7_31
; %bb.30:
	s_waitcnt lgkmcnt(0)
	v_add_f32_e32 v1, v1, v8
	v_lshrrev_b32_e32 v8, 3, v0
	ds_store_b32 v8, v1
.LBB7_31:
	s_or_b32 exec_lo, exec_lo, s3
	s_waitcnt lgkmcnt(0)
	v_mov_b32_e32 v8, 0
	s_barrier
	buffer_gl0_inv
	s_and_saveexec_b32 s3, s0
	s_cbranch_execz .LBB7_33
; %bb.32:
	v_lshlrev_b32_e32 v1, 2, v9
	ds_load_b32 v8, v1
.LBB7_33:
	s_or_b32 exec_lo, exec_lo, s3
	s_and_saveexec_b32 s0, s1
	s_cbranch_execz .LBB7_35
; %bb.34:
	s_waitcnt lgkmcnt(0)
	ds_bpermute_b32 v1, v2, v8
	s_waitcnt lgkmcnt(0)
	v_add_f32_e32 v1, v8, v1
	ds_bpermute_b32 v2, v3, v1
	s_waitcnt lgkmcnt(0)
	v_add_f32_e32 v1, v1, v2
	;; [unrolled: 3-line block ×5, first 2 shown]
.LBB7_35:
	s_or_b32 exec_lo, exec_lo, s0
	s_delay_alu instid0(SALU_CYCLE_1)
	s_mov_b32 s0, exec_lo
	v_cmpx_eq_u32_e32 0, v0
	s_cbranch_execz .LBB7_48
; %bb.36:
	v_bfrev_b32_e32 v2, 1
	s_mov_b32 s1, exec_lo
.LBB7_37:                               ; =>This Inner Loop Header: Depth=1
	s_delay_alu instid0(SALU_CYCLE_1) | instskip(NEXT) | instid1(SALU_CYCLE_1)
	s_ctz_i32_b32 s3, s1
	v_readlane_b32 s8, v7, s3
	s_lshl_b32 s3, 1, s3
	s_delay_alu instid0(SALU_CYCLE_1) | instskip(NEXT) | instid1(SALU_CYCLE_1)
	s_and_not1_b32 s1, s1, s3
	s_cmp_lg_u32 s1, 0
	s_delay_alu instid0(VALU_DEP_1)
	v_add_f32_e32 v2, s8, v2
	s_cbranch_scc1 .LBB7_37
; %bb.38:
	v_mbcnt_lo_u32_b32 v0, exec_lo, 0
	s_mov_b32 s3, 0
	s_mov_b32 s1, exec_lo
	s_delay_alu instid0(VALU_DEP_1)
	v_cmpx_eq_u32_e32 0, v0
	s_xor_b32 s1, exec_lo, s1
	s_cbranch_execz .LBB7_42
; %bb.39:
	s_load_b32 s8, s[6:7], 0x0
	v_mov_b32_e32 v3, 0
	s_waitcnt lgkmcnt(0)
	v_mov_b32_e32 v1, s8
.LBB7_40:                               ; =>This Inner Loop Header: Depth=1
	s_delay_alu instid0(VALU_DEP_1)
	v_add_f32_e32 v0, v1, v2
	global_atomic_cmpswap_b32 v0, v3, v[0:1], s[6:7] glc
	s_waitcnt vmcnt(0)
	v_cmp_eq_u32_e32 vcc_lo, v0, v1
	v_mov_b32_e32 v1, v0
	s_or_b32 s3, vcc_lo, s3
	s_delay_alu instid0(SALU_CYCLE_1)
	s_and_not1_b32 exec_lo, exec_lo, s3
	s_cbranch_execnz .LBB7_40
; %bb.41:
	s_or_b32 exec_lo, exec_lo, s3
.LBB7_42:
	s_delay_alu instid0(SALU_CYCLE_1)
	s_or_b32 exec_lo, exec_lo, s1
	v_bfrev_b32_e32 v2, 1
	s_mov_b32 s1, exec_lo
.LBB7_43:                               ; =>This Inner Loop Header: Depth=1
	s_delay_alu instid0(SALU_CYCLE_1) | instskip(SKIP_3) | instid1(SALU_CYCLE_1)
	s_ctz_i32_b32 s3, s1
	s_waitcnt lgkmcnt(0)
	v_readlane_b32 s6, v8, s3
	s_lshl_b32 s3, 1, s3
	s_and_not1_b32 s1, s1, s3
	s_delay_alu instid0(SALU_CYCLE_1) | instskip(NEXT) | instid1(VALU_DEP_1)
	s_cmp_lg_u32 s1, 0
	v_add_f32_e32 v2, s6, v2
	s_cbranch_scc1 .LBB7_43
; %bb.44:
	v_mbcnt_lo_u32_b32 v0, exec_lo, 0
	s_mov_b32 s1, 0
	s_mov_b32 s3, exec_lo
	s_delay_alu instid0(VALU_DEP_1)
	v_cmpx_eq_u32_e32 0, v0
	s_xor_b32 s3, exec_lo, s3
	s_cbranch_execz .LBB7_48
; %bb.45:
	v_mov_b32_e32 v3, 0
	global_load_b32 v1, v3, s[4:5]
.LBB7_46:                               ; =>This Inner Loop Header: Depth=1
	s_waitcnt vmcnt(0)
	v_add_f32_e32 v0, v1, v2
	global_atomic_cmpswap_b32 v0, v3, v[0:1], s[4:5] glc
	s_waitcnt vmcnt(0)
	v_cmp_eq_u32_e32 vcc_lo, v0, v1
	v_mov_b32_e32 v1, v0
	s_or_b32 s1, vcc_lo, s1
	s_delay_alu instid0(SALU_CYCLE_1)
	s_and_not1_b32 exec_lo, exec_lo, s1
	s_cbranch_execnz .LBB7_46
; %bb.47:
	s_or_b32 exec_lo, exec_lo, s1
.LBB7_48:
	s_delay_alu instid0(SALU_CYCLE_1) | instskip(NEXT) | instid1(SALU_CYCLE_1)
	s_or_b32 exec_lo, exec_lo, s0
	s_and_not1_b32 s13, s13, exec_lo
	s_or_b32 exec_lo, exec_lo, s2
	s_mov_b32 s0, 0
	s_and_saveexec_b32 s1, s13
	s_cbranch_execz .LBB7_3
.LBB7_49:
	s_cbranch_execnz .LBB7_53
; %bb.50:
	s_mov_b32 s0, exec_lo
	s_or_b32 exec_lo, exec_lo, s1
	s_and_saveexec_b32 s1, s12
	s_cbranch_execz .LBB7_4
.LBB7_51:
	s_cbranch_execnz .LBB7_55
; %bb.52:
	s_or_b32 s0, s0, exec_lo
	s_or_b32 exec_lo, exec_lo, s1
	s_and_saveexec_b32 s1, s0
	s_cbranch_execnz .LBB7_5
	s_branch .LBB7_6
.LBB7_53:
	s_trap 2
	s_sendmsg_rtn_b32 s0, sendmsg(MSG_RTN_GET_DOORBELL)
	s_mov_b32 ttmp2, m0
	s_waitcnt lgkmcnt(0)
	s_and_b32 s0, s0, 0x3ff
	s_delay_alu instid0(SALU_CYCLE_1) | instskip(NEXT) | instid1(SALU_CYCLE_1)
	s_bitset1_b32 s0, 10
	s_mov_b32 m0, s0
	s_sendmsg sendmsg(MSG_INTERRUPT)
	s_mov_b32 m0, ttmp2
.LBB7_54:                               ; =>This Inner Loop Header: Depth=1
	s_sethalt 5
	s_branch .LBB7_54
.LBB7_55:
	s_trap 2
	s_sendmsg_rtn_b32 s0, sendmsg(MSG_RTN_GET_DOORBELL)
	s_mov_b32 ttmp2, m0
	s_waitcnt lgkmcnt(0)
	s_and_b32 s0, s0, 0x3ff
	s_delay_alu instid0(SALU_CYCLE_1) | instskip(NEXT) | instid1(SALU_CYCLE_1)
	s_bitset1_b32 s0, 10
	s_mov_b32 m0, s0
	s_sendmsg sendmsg(MSG_INTERRUPT)
	s_mov_b32 m0, ttmp2
.LBB7_56:                               ; =>This Inner Loop Header: Depth=1
	s_sethalt 5
	s_branch .LBB7_56
	.section	.rodata,"a",@progbits
	.p2align	6, 0x0
	.amdhsa_kernel _ZN2at6native12_GLOBAL__N_125nll_loss2d_forward_kernelIffiEEvPT_S4_PKS3_PKlS6_iiil
		.amdhsa_group_segment_fixed_size 8192
		.amdhsa_private_segment_fixed_size 0
		.amdhsa_kernarg_size 320
		.amdhsa_user_sgpr_count 15
		.amdhsa_user_sgpr_dispatch_ptr 0
		.amdhsa_user_sgpr_queue_ptr 0
		.amdhsa_user_sgpr_kernarg_segment_ptr 1
		.amdhsa_user_sgpr_dispatch_id 0
		.amdhsa_user_sgpr_private_segment_size 0
		.amdhsa_wavefront_size32 1
		.amdhsa_uses_dynamic_stack 0
		.amdhsa_enable_private_segment 0
		.amdhsa_system_sgpr_workgroup_id_x 1
		.amdhsa_system_sgpr_workgroup_id_y 0
		.amdhsa_system_sgpr_workgroup_id_z 0
		.amdhsa_system_sgpr_workgroup_info 0
		.amdhsa_system_vgpr_workitem_id 0
		.amdhsa_next_free_vgpr 12
		.amdhsa_next_free_sgpr 28
		.amdhsa_reserve_vcc 1
		.amdhsa_float_round_mode_32 0
		.amdhsa_float_round_mode_16_64 0
		.amdhsa_float_denorm_mode_32 3
		.amdhsa_float_denorm_mode_16_64 3
		.amdhsa_dx10_clamp 1
		.amdhsa_ieee_mode 1
		.amdhsa_fp16_overflow 0
		.amdhsa_workgroup_processor_mode 1
		.amdhsa_memory_ordered 1
		.amdhsa_forward_progress 0
		.amdhsa_shared_vgpr_count 0
		.amdhsa_exception_fp_ieee_invalid_op 0
		.amdhsa_exception_fp_denorm_src 0
		.amdhsa_exception_fp_ieee_div_zero 0
		.amdhsa_exception_fp_ieee_overflow 0
		.amdhsa_exception_fp_ieee_underflow 0
		.amdhsa_exception_fp_ieee_inexact 0
		.amdhsa_exception_int_div_zero 0
	.end_amdhsa_kernel
	.section	.text._ZN2at6native12_GLOBAL__N_125nll_loss2d_forward_kernelIffiEEvPT_S4_PKS3_PKlS6_iiil,"axG",@progbits,_ZN2at6native12_GLOBAL__N_125nll_loss2d_forward_kernelIffiEEvPT_S4_PKS3_PKlS6_iiil,comdat
.Lfunc_end7:
	.size	_ZN2at6native12_GLOBAL__N_125nll_loss2d_forward_kernelIffiEEvPT_S4_PKS3_PKlS6_iiil, .Lfunc_end7-_ZN2at6native12_GLOBAL__N_125nll_loss2d_forward_kernelIffiEEvPT_S4_PKS3_PKlS6_iiil
                                        ; -- End function
	.section	.AMDGPU.csdata,"",@progbits
; Kernel info:
; codeLenInByte = 2008
; NumSgprs: 30
; NumVgprs: 12
; ScratchSize: 0
; MemoryBound: 0
; FloatMode: 240
; IeeeMode: 1
; LDSByteSize: 8192 bytes/workgroup (compile time only)
; SGPRBlocks: 3
; VGPRBlocks: 1
; NumSGPRsForWavesPerEU: 30
; NumVGPRsForWavesPerEU: 12
; Occupancy: 16
; WaveLimiterHint : 1
; COMPUTE_PGM_RSRC2:SCRATCH_EN: 0
; COMPUTE_PGM_RSRC2:USER_SGPR: 15
; COMPUTE_PGM_RSRC2:TRAP_HANDLER: 0
; COMPUTE_PGM_RSRC2:TGID_X_EN: 1
; COMPUTE_PGM_RSRC2:TGID_Y_EN: 0
; COMPUTE_PGM_RSRC2:TGID_Z_EN: 0
; COMPUTE_PGM_RSRC2:TIDIG_COMP_CNT: 0
	.section	.text._ZN2at6native12_GLOBAL__N_138nll_loss2d_forward_size_average_kernelIfEEvPT_PKS3_,"axG",@progbits,_ZN2at6native12_GLOBAL__N_138nll_loss2d_forward_size_average_kernelIfEEvPT_PKS3_,comdat
	.globl	_ZN2at6native12_GLOBAL__N_138nll_loss2d_forward_size_average_kernelIfEEvPT_PKS3_ ; -- Begin function _ZN2at6native12_GLOBAL__N_138nll_loss2d_forward_size_average_kernelIfEEvPT_PKS3_
	.p2align	8
	.type	_ZN2at6native12_GLOBAL__N_138nll_loss2d_forward_size_average_kernelIfEEvPT_PKS3_,@function
_ZN2at6native12_GLOBAL__N_138nll_loss2d_forward_size_average_kernelIfEEvPT_PKS3_: ; @_ZN2at6native12_GLOBAL__N_138nll_loss2d_forward_size_average_kernelIfEEvPT_PKS3_
; %bb.0:
	s_load_b128 s[0:3], s[0:1], 0x0
	s_waitcnt lgkmcnt(0)
	s_load_b32 s2, s[2:3], 0x0
	s_load_b32 s3, s[0:1], 0x0
	s_waitcnt lgkmcnt(0)
	v_div_scale_f32 v0, null, s2, s2, s3
	s_delay_alu instid0(VALU_DEP_1) | instskip(SKIP_2) | instid1(VALU_DEP_1)
	v_rcp_f32_e32 v1, v0
	s_waitcnt_depctr 0xfff
	v_fma_f32 v2, -v0, v1, 1.0
	v_fmac_f32_e32 v1, v2, v1
	v_div_scale_f32 v2, vcc_lo, s3, s2, s3
	s_delay_alu instid0(VALU_DEP_1) | instskip(NEXT) | instid1(VALU_DEP_1)
	v_mul_f32_e32 v3, v2, v1
	v_fma_f32 v4, -v0, v3, v2
	s_delay_alu instid0(VALU_DEP_1) | instskip(NEXT) | instid1(VALU_DEP_1)
	v_fmac_f32_e32 v3, v4, v1
	v_fma_f32 v0, -v0, v3, v2
	s_delay_alu instid0(VALU_DEP_1) | instskip(SKIP_1) | instid1(VALU_DEP_2)
	v_div_fmas_f32 v0, v0, v1, v3
	v_mov_b32_e32 v1, 0
	v_div_fixup_f32 v0, v0, s2, s3
	global_store_b32 v1, v0, s[0:1]
	s_nop 0
	s_sendmsg sendmsg(MSG_DEALLOC_VGPRS)
	s_endpgm
	.section	.rodata,"a",@progbits
	.p2align	6, 0x0
	.amdhsa_kernel _ZN2at6native12_GLOBAL__N_138nll_loss2d_forward_size_average_kernelIfEEvPT_PKS3_
		.amdhsa_group_segment_fixed_size 0
		.amdhsa_private_segment_fixed_size 0
		.amdhsa_kernarg_size 16
		.amdhsa_user_sgpr_count 15
		.amdhsa_user_sgpr_dispatch_ptr 0
		.amdhsa_user_sgpr_queue_ptr 0
		.amdhsa_user_sgpr_kernarg_segment_ptr 1
		.amdhsa_user_sgpr_dispatch_id 0
		.amdhsa_user_sgpr_private_segment_size 0
		.amdhsa_wavefront_size32 1
		.amdhsa_uses_dynamic_stack 0
		.amdhsa_enable_private_segment 0
		.amdhsa_system_sgpr_workgroup_id_x 1
		.amdhsa_system_sgpr_workgroup_id_y 0
		.amdhsa_system_sgpr_workgroup_id_z 0
		.amdhsa_system_sgpr_workgroup_info 0
		.amdhsa_system_vgpr_workitem_id 0
		.amdhsa_next_free_vgpr 5
		.amdhsa_next_free_sgpr 4
		.amdhsa_reserve_vcc 1
		.amdhsa_float_round_mode_32 0
		.amdhsa_float_round_mode_16_64 0
		.amdhsa_float_denorm_mode_32 3
		.amdhsa_float_denorm_mode_16_64 3
		.amdhsa_dx10_clamp 1
		.amdhsa_ieee_mode 1
		.amdhsa_fp16_overflow 0
		.amdhsa_workgroup_processor_mode 1
		.amdhsa_memory_ordered 1
		.amdhsa_forward_progress 0
		.amdhsa_shared_vgpr_count 0
		.amdhsa_exception_fp_ieee_invalid_op 0
		.amdhsa_exception_fp_denorm_src 0
		.amdhsa_exception_fp_ieee_div_zero 0
		.amdhsa_exception_fp_ieee_overflow 0
		.amdhsa_exception_fp_ieee_underflow 0
		.amdhsa_exception_fp_ieee_inexact 0
		.amdhsa_exception_int_div_zero 0
	.end_amdhsa_kernel
	.section	.text._ZN2at6native12_GLOBAL__N_138nll_loss2d_forward_size_average_kernelIfEEvPT_PKS3_,"axG",@progbits,_ZN2at6native12_GLOBAL__N_138nll_loss2d_forward_size_average_kernelIfEEvPT_PKS3_,comdat
.Lfunc_end8:
	.size	_ZN2at6native12_GLOBAL__N_138nll_loss2d_forward_size_average_kernelIfEEvPT_PKS3_, .Lfunc_end8-_ZN2at6native12_GLOBAL__N_138nll_loss2d_forward_size_average_kernelIfEEvPT_PKS3_
                                        ; -- End function
	.section	.AMDGPU.csdata,"",@progbits
; Kernel info:
; codeLenInByte = 148
; NumSgprs: 6
; NumVgprs: 5
; ScratchSize: 0
; MemoryBound: 0
; FloatMode: 240
; IeeeMode: 1
; LDSByteSize: 0 bytes/workgroup (compile time only)
; SGPRBlocks: 0
; VGPRBlocks: 0
; NumSGPRsForWavesPerEU: 6
; NumVGPRsForWavesPerEU: 5
; Occupancy: 16
; WaveLimiterHint : 0
; COMPUTE_PGM_RSRC2:SCRATCH_EN: 0
; COMPUTE_PGM_RSRC2:USER_SGPR: 15
; COMPUTE_PGM_RSRC2:TRAP_HANDLER: 0
; COMPUTE_PGM_RSRC2:TGID_X_EN: 1
; COMPUTE_PGM_RSRC2:TGID_Y_EN: 0
; COMPUTE_PGM_RSRC2:TGID_Z_EN: 0
; COMPUTE_PGM_RSRC2:TIDIG_COMP_CNT: 0
	.section	.text._ZN2at6native12_GLOBAL__N_125nll_loss2d_forward_kernelIfflEEvPT_S4_PKS3_PKlS6_iiil,"axG",@progbits,_ZN2at6native12_GLOBAL__N_125nll_loss2d_forward_kernelIfflEEvPT_S4_PKS3_PKlS6_iiil,comdat
	.globl	_ZN2at6native12_GLOBAL__N_125nll_loss2d_forward_kernelIfflEEvPT_S4_PKS3_PKlS6_iiil ; -- Begin function _ZN2at6native12_GLOBAL__N_125nll_loss2d_forward_kernelIfflEEvPT_S4_PKS3_PKlS6_iiil
	.p2align	8
	.type	_ZN2at6native12_GLOBAL__N_125nll_loss2d_forward_kernelIfflEEvPT_S4_PKS3_PKlS6_iiil,@function
_ZN2at6native12_GLOBAL__N_125nll_loss2d_forward_kernelIfflEEvPT_S4_PKS3_PKlS6_iiil: ; @_ZN2at6native12_GLOBAL__N_125nll_loss2d_forward_kernelIfflEEvPT_S4_PKS3_PKlS6_iiil
; %bb.0:
	s_clause 0x1
	s_load_b128 s[16:19], s[0:1], 0x28
	s_load_b32 s12, s[0:1], 0x4c
	v_mov_b32_e32 v3, 0
	s_mov_b32 s20, exec_lo
	v_mov_b32_e32 v4, 0
	s_waitcnt lgkmcnt(0)
	v_cvt_f32_u32_e32 v1, s18
	s_sub_i32 s3, 0, s18
	s_delay_alu instid0(VALU_DEP_1) | instskip(SKIP_2) | instid1(VALU_DEP_1)
	v_rcp_iflag_f32_e32 v1, v1
	s_waitcnt_depctr 0xfff
	v_mul_f32_e32 v1, 0x4f7ffffe, v1
	v_cvt_u32_f32_e32 v1, v1
	s_delay_alu instid0(VALU_DEP_1) | instskip(NEXT) | instid1(VALU_DEP_1)
	v_readfirstlane_b32 s2, v1
	s_mul_i32 s3, s3, s2
	s_delay_alu instid0(SALU_CYCLE_1) | instskip(NEXT) | instid1(SALU_CYCLE_1)
	s_mul_hi_u32 s3, s2, s3
	s_add_i32 s2, s2, s3
	s_delay_alu instid0(SALU_CYCLE_1) | instskip(NEXT) | instid1(SALU_CYCLE_1)
	s_mul_hi_u32 s4, s15, s2
	s_mul_i32 s2, s4, s18
	s_add_i32 s6, s4, 1
	s_sub_i32 s5, s15, s2
	s_load_b64 s[2:3], s[0:1], 0x20
	s_sub_i32 s7, s5, s18
	s_cmp_ge_u32 s5, s18
	s_cselect_b32 s13, s6, s4
	s_cselect_b32 s4, s7, s5
	s_add_i32 s14, s13, 1
	s_cmp_ge_u32 s4, s18
	s_load_b256 s[4:11], s[0:1], 0x0
	s_cselect_b32 s14, s14, s13
	s_and_b32 s19, s12, 0xffff
	s_mul_i32 s13, s14, s18
	s_delay_alu instid0(SALU_CYCLE_1) | instskip(SKIP_4) | instid1(VALU_DEP_1)
	s_sub_i32 s12, s15, s13
	s_mov_b32 s13, 0
	v_mad_u64_u32 v[1:2], null, s12, s19, v[0:1]
	s_mov_b32 s15, -1
	s_mov_b32 s12, 0
	v_cmpx_gt_i32_e64 s17, v1
	s_cbranch_execnz .LBB9_7
; %bb.1:
	s_or_b32 exec_lo, exec_lo, s20
	s_and_saveexec_b32 s0, s15
	s_waitcnt lgkmcnt(0)
	s_xor_b32 s2, exec_lo, s0
	s_cbranch_execnz .LBB9_23
.LBB9_2:
	s_or_b32 exec_lo, exec_lo, s2
	s_mov_b32 s0, 0
	s_and_saveexec_b32 s1, s13
	s_cbranch_execnz .LBB9_49
.LBB9_3:
	s_or_b32 exec_lo, exec_lo, s1
	s_and_saveexec_b32 s1, s12
	s_cbranch_execnz .LBB9_51
.LBB9_4:
	s_or_b32 exec_lo, exec_lo, s1
	s_and_saveexec_b32 s1, s0
.LBB9_5:
	; divergent unreachable
.LBB9_6:
	s_endpgm
.LBB9_7:
	s_load_b64 s[12:13], s[0:1], 0x38
	s_ashr_i32 s1, s17, 31
	v_ashrrev_i32_e32 v2, 31, v1
	s_mul_hi_u32 s0, s14, s17
	s_mul_i32 s15, s14, s1
	s_mov_b32 s21, s17
	s_add_i32 s23, s0, s15
	s_mul_i32 s22, s14, s17
	s_ashr_i32 s17, s16, 31
	s_waitcnt lgkmcnt(0)
	s_cmp_lg_u64 s[2:3], 0
	v_lshlrev_b64 v[5:6], 3, v[1:2]
	s_mul_i32 s14, s19, s18
	s_cselect_b32 s18, -1, 0
	s_lshl_b64 s[24:25], s[22:23], 3
	v_mad_u64_u32 v[3:4], null, s22, s16, v[1:2]
	s_add_u32 s0, s10, s24
	s_addc_u32 s10, s11, s25
	v_add_co_u32 v5, vcc_lo, s0, v5
	v_add_co_ci_u32_e32 v6, vcc_lo, s10, v6, vcc_lo
	s_mul_i32 s0, s22, s17
	s_mul_i32 s10, s23, s16
	v_dual_mov_b32 v2, 0 :: v_dual_mov_b32 v11, 0
	v_add3_u32 v4, s0, s10, v4
	s_ashr_i32 s15, s14, 31
	s_mov_b32 s24, 0
	s_lshl_b64 s[10:11], s[14:15], 3
                                        ; implicit-def: $sgpr23
                                        ; implicit-def: $sgpr22
	s_branch .LBB9_9
.LBB9_8:                                ;   in Loop: Header=BB9_9 Depth=1
	s_or_b32 exec_lo, exec_lo, s25
	s_xor_b32 s25, s27, -1
	s_xor_b32 s26, s26, -1
	s_and_b32 s0, exec_lo, s0
	s_delay_alu instid0(SALU_CYCLE_1)
	s_or_b32 s24, s0, s24
	s_and_not1_b32 s0, s22, exec_lo
	s_and_b32 s22, s25, exec_lo
	s_and_not1_b32 s23, s23, exec_lo
	s_and_b32 s25, s26, exec_lo
	s_or_b32 s22, s0, s22
	s_or_b32 s23, s23, s25
	s_and_not1_b32 exec_lo, exec_lo, s24
	s_cbranch_execz .LBB9_20
.LBB9_9:                                ; =>This Inner Loop Header: Depth=1
	global_load_b64 v[7:8], v[5:6], off
	s_mov_b32 s28, -1
	s_mov_b32 s25, exec_lo
                                        ; implicit-def: $sgpr26
                                        ; implicit-def: $sgpr27
	s_waitcnt vmcnt(0)
	v_cmpx_ne_u64_e64 s[12:13], v[7:8]
	s_cbranch_execz .LBB9_18
; %bb.10:                               ;   in Loop: Header=BB9_9 Depth=1
	v_cmp_lt_i64_e32 vcc_lo, -1, v[7:8]
	v_cmp_gt_i64_e64 s0, s[16:17], v[7:8]
	s_mov_b32 s26, -1
	s_mov_b32 s28, 0
	s_mov_b32 s29, 0
	s_delay_alu instid0(VALU_DEP_1) | instskip(NEXT) | instid1(SALU_CYCLE_1)
	s_and_b32 s27, vcc_lo, s0
	s_and_saveexec_b32 s0, s27
	s_cbranch_execz .LBB9_17
; %bb.11:                               ;   in Loop: Header=BB9_9 Depth=1
	s_and_not1_b32 vcc_lo, exec_lo, s18
	s_cbranch_vccnz .LBB9_13
; %bb.12:                               ;   in Loop: Header=BB9_9 Depth=1
	v_lshlrev_b64 v[9:10], 2, v[7:8]
	s_delay_alu instid0(VALU_DEP_1) | instskip(NEXT) | instid1(VALU_DEP_2)
	v_add_co_u32 v9, vcc_lo, s2, v9
	v_add_co_ci_u32_e32 v10, vcc_lo, s3, v10, vcc_lo
	global_load_b32 v12, v[9:10], off
	s_branch .LBB9_14
.LBB9_13:                               ;   in Loop: Header=BB9_9 Depth=1
	v_mov_b32_e32 v12, 1.0
.LBB9_14:                               ;   in Loop: Header=BB9_9 Depth=1
	v_mad_u64_u32 v[9:10], null, v7, s21, v[3:4]
	v_mul_lo_u32 v7, v7, s1
	v_mul_lo_u32 v8, v8, s21
	s_mov_b32 s27, 0
	s_mov_b32 s26, exec_lo
	s_delay_alu instid0(VALU_DEP_1) | instskip(NEXT) | instid1(VALU_DEP_1)
	v_add3_u32 v10, v8, v10, v7
	v_cmpx_lt_i64_e32 -1, v[9:10]
	s_cbranch_execz .LBB9_16
; %bb.15:                               ;   in Loop: Header=BB9_9 Depth=1
	v_lshlrev_b64 v[7:8], 2, v[9:10]
	s_waitcnt vmcnt(0)
	v_add_f32_e32 v11, v11, v12
	s_mov_b32 s27, exec_lo
	s_delay_alu instid0(VALU_DEP_2) | instskip(NEXT) | instid1(VALU_DEP_3)
	v_add_co_u32 v7, vcc_lo, s8, v7
	v_add_co_ci_u32_e32 v8, vcc_lo, s9, v8, vcc_lo
	global_load_b32 v7, v[7:8], off
	s_waitcnt vmcnt(0)
	v_fma_f32 v2, -v12, v7, v2
.LBB9_16:                               ;   in Loop: Header=BB9_9 Depth=1
	s_or_b32 exec_lo, exec_lo, s26
	s_delay_alu instid0(SALU_CYCLE_1)
	s_mov_b32 s29, exec_lo
	s_xor_b32 s26, exec_lo, -1
	s_and_b32 s28, s27, exec_lo
.LBB9_17:                               ;   in Loop: Header=BB9_9 Depth=1
	s_or_b32 exec_lo, exec_lo, s0
	s_delay_alu instid0(SALU_CYCLE_1)
	s_and_b32 s27, s29, exec_lo
	s_and_b32 s26, s26, exec_lo
	s_or_not1_b32 s28, s28, exec_lo
.LBB9_18:                               ;   in Loop: Header=BB9_9 Depth=1
	s_or_b32 exec_lo, exec_lo, s25
	s_mov_b32 s0, -1
	s_and_saveexec_b32 s25, s28
	s_cbranch_execz .LBB9_8
; %bb.19:                               ;   in Loop: Header=BB9_9 Depth=1
	v_add_nc_u32_e32 v1, s14, v1
	v_add_co_u32 v5, vcc_lo, v5, s10
	v_add_co_ci_u32_e32 v6, vcc_lo, s11, v6, vcc_lo
	s_delay_alu instid0(VALU_DEP_3) | instskip(SKIP_1) | instid1(VALU_DEP_1)
	v_cmp_le_i32_e32 vcc_lo, s21, v1
	v_add_co_u32 v3, s0, v3, s14
	v_add_co_ci_u32_e64 v4, s0, s15, v4, s0
	s_and_not1_b32 s27, s27, exec_lo
	s_and_not1_b32 s26, s26, exec_lo
	s_or_not1_b32 s0, vcc_lo, exec_lo
	s_branch .LBB9_8
.LBB9_20:
	s_or_b32 exec_lo, exec_lo, s24
	v_dual_mov_b32 v3, 0 :: v_dual_mov_b32 v4, 0
	s_mov_b32 s1, 0
	s_mov_b32 s3, -1
	s_mov_b32 s0, 0
	s_and_saveexec_b32 s2, s23
	s_delay_alu instid0(SALU_CYCLE_1)
	s_xor_b32 s2, exec_lo, s2
; %bb.21:
	v_dual_mov_b32 v3, v2 :: v_dual_mov_b32 v4, v11
	s_mov_b32 s0, exec_lo
	s_xor_b32 s3, exec_lo, -1
	s_and_b32 s1, s22, exec_lo
; %bb.22:
	s_or_b32 exec_lo, exec_lo, s2
	s_delay_alu instid0(SALU_CYCLE_1) | instskip(SKIP_4) | instid1(SALU_CYCLE_1)
	s_and_b32 s12, s3, exec_lo
	s_and_b32 s13, s0, exec_lo
	s_or_not1_b32 s15, s1, exec_lo
	s_or_b32 exec_lo, exec_lo, s20
	s_and_saveexec_b32 s0, s15
	s_xor_b32 s2, exec_lo, s0
	s_cbranch_execz .LBB9_2
.LBB9_23:
	v_mbcnt_lo_u32_b32 v6, -1, 0
	s_waitcnt vmcnt(0)
	s_barrier
	buffer_gl0_inv
	v_cmp_gt_u32_e32 vcc_lo, 16, v6
	v_cndmask_b32_e64 v1, 0, 1, vcc_lo
	v_cmp_gt_u32_e32 vcc_lo, 24, v6
	s_delay_alu instid0(VALU_DEP_2) | instskip(SKIP_2) | instid1(VALU_DEP_3)
	v_lshlrev_b32_e32 v1, 4, v1
	v_cndmask_b32_e64 v2, 0, 1, vcc_lo
	v_cmp_gt_u32_e32 vcc_lo, 28, v6
	v_add_lshl_u32 v1, v1, v6, 2
	ds_bpermute_b32 v5, v1, v4
	s_waitcnt lgkmcnt(0)
	v_dual_add_f32 v5, v4, v5 :: v_dual_lshlrev_b32 v2, 3, v2
	s_delay_alu instid0(VALU_DEP_1)
	v_add_lshl_u32 v2, v2, v6, 2
	v_cndmask_b32_e64 v4, 0, 1, vcc_lo
	v_cmp_gt_u32_e32 vcc_lo, 30, v6
	ds_bpermute_b32 v7, v2, v5
	s_waitcnt lgkmcnt(0)
	v_dual_add_f32 v7, v5, v7 :: v_dual_lshlrev_b32 v4, 2, v4
	s_delay_alu instid0(VALU_DEP_1) | instskip(SKIP_4) | instid1(VALU_DEP_1)
	v_add_lshl_u32 v4, v4, v6, 2
	v_cndmask_b32_e64 v5, 0, 1, vcc_lo
	v_cmp_ne_u32_e32 vcc_lo, 31, v6
	ds_bpermute_b32 v8, v4, v7
	v_lshlrev_b32_e32 v5, 1, v5
	v_add_lshl_u32 v5, v5, v6, 2
	v_add_co_ci_u32_e32 v6, vcc_lo, 0, v6, vcc_lo
	s_waitcnt lgkmcnt(0)
	s_delay_alu instid0(VALU_DEP_1)
	v_dual_add_f32 v7, v7, v8 :: v_dual_lshlrev_b32 v6, 2, v6
	ds_bpermute_b32 v8, v5, v7
	s_waitcnt lgkmcnt(0)
	v_add_f32_e32 v7, v7, v8
	v_and_b32_e32 v8, 31, v0
	ds_bpermute_b32 v9, v6, v7
	v_cmp_eq_u32_e32 vcc_lo, 0, v8
	s_and_saveexec_b32 s0, vcc_lo
	s_cbranch_execz .LBB9_25
; %bb.24:
	s_waitcnt lgkmcnt(0)
	v_add_f32_e32 v7, v7, v9
	v_lshrrev_b32_e32 v9, 3, v0
	ds_store_b32 v9, v7 offset:4096
.LBB9_25:
	s_or_b32 exec_lo, exec_lo, s0
	s_lshr_b32 s0, s19, 5
	v_mov_b32_e32 v7, 0
	v_cmp_gt_u32_e64 s0, s0, v0
	s_waitcnt lgkmcnt(0)
	s_barrier
	buffer_gl0_inv
	s_and_saveexec_b32 s1, s0
	s_cbranch_execz .LBB9_27
; %bb.26:
	v_lshlrev_b32_e32 v7, 2, v8
	ds_load_b32 v7, v7 offset:4096
.LBB9_27:
	s_or_b32 exec_lo, exec_lo, s1
	v_cmp_gt_u32_e64 s1, 32, v0
	s_delay_alu instid0(VALU_DEP_1)
	s_and_saveexec_b32 s3, s1
	s_cbranch_execz .LBB9_29
; %bb.28:
	s_waitcnt lgkmcnt(0)
	ds_bpermute_b32 v9, v1, v7
	s_waitcnt lgkmcnt(0)
	v_add_f32_e32 v7, v7, v9
	ds_bpermute_b32 v9, v2, v7
	s_waitcnt lgkmcnt(0)
	v_add_f32_e32 v7, v7, v9
	;; [unrolled: 3-line block ×5, first 2 shown]
.LBB9_29:
	s_or_b32 exec_lo, exec_lo, s3
	ds_bpermute_b32 v9, v1, v3
	s_waitcnt lgkmcnt(0)
	s_barrier
	buffer_gl0_inv
	v_add_f32_e32 v3, v3, v9
	ds_bpermute_b32 v9, v2, v3
	s_waitcnt lgkmcnt(0)
	v_add_f32_e32 v3, v3, v9
	ds_bpermute_b32 v9, v4, v3
	s_waitcnt lgkmcnt(0)
	;; [unrolled: 3-line block ×3, first 2 shown]
	v_add_f32_e32 v3, v3, v9
	ds_bpermute_b32 v9, v6, v3
	s_and_saveexec_b32 s3, vcc_lo
	s_cbranch_execz .LBB9_31
; %bb.30:
	s_waitcnt lgkmcnt(0)
	v_add_f32_e32 v3, v3, v9
	v_lshrrev_b32_e32 v9, 3, v0
	ds_store_b32 v9, v3
.LBB9_31:
	s_or_b32 exec_lo, exec_lo, s3
	v_mov_b32_e32 v3, 0
	s_waitcnt lgkmcnt(0)
	s_barrier
	buffer_gl0_inv
	s_and_saveexec_b32 s3, s0
	s_cbranch_execz .LBB9_33
; %bb.32:
	v_lshlrev_b32_e32 v3, 2, v8
	ds_load_b32 v3, v3
.LBB9_33:
	s_or_b32 exec_lo, exec_lo, s3
	s_and_saveexec_b32 s0, s1
	s_cbranch_execz .LBB9_35
; %bb.34:
	s_waitcnt lgkmcnt(0)
	ds_bpermute_b32 v1, v1, v3
	s_waitcnt lgkmcnt(0)
	v_add_f32_e32 v1, v3, v1
	ds_bpermute_b32 v2, v2, v1
	s_waitcnt lgkmcnt(0)
	v_add_f32_e32 v1, v1, v2
	;; [unrolled: 3-line block ×5, first 2 shown]
.LBB9_35:
	s_or_b32 exec_lo, exec_lo, s0
	s_delay_alu instid0(SALU_CYCLE_1)
	s_mov_b32 s0, exec_lo
	v_cmpx_eq_u32_e32 0, v0
	s_cbranch_execz .LBB9_48
; %bb.36:
	v_bfrev_b32_e32 v2, 1
	s_mov_b32 s1, exec_lo
.LBB9_37:                               ; =>This Inner Loop Header: Depth=1
	s_delay_alu instid0(SALU_CYCLE_1) | instskip(NEXT) | instid1(SALU_CYCLE_1)
	s_ctz_i32_b32 s3, s1
	v_readlane_b32 s8, v7, s3
	s_lshl_b32 s3, 1, s3
	s_delay_alu instid0(SALU_CYCLE_1) | instskip(NEXT) | instid1(SALU_CYCLE_1)
	s_and_not1_b32 s1, s1, s3
	s_cmp_lg_u32 s1, 0
	s_delay_alu instid0(VALU_DEP_1)
	v_add_f32_e32 v2, s8, v2
	s_cbranch_scc1 .LBB9_37
; %bb.38:
	v_mbcnt_lo_u32_b32 v0, exec_lo, 0
	s_mov_b32 s3, 0
	s_mov_b32 s1, exec_lo
	s_delay_alu instid0(VALU_DEP_1)
	v_cmpx_eq_u32_e32 0, v0
	s_xor_b32 s1, exec_lo, s1
	s_cbranch_execz .LBB9_42
; %bb.39:
	s_load_b32 s8, s[6:7], 0x0
	s_waitcnt lgkmcnt(0)
	v_dual_mov_b32 v4, 0 :: v_dual_mov_b32 v1, s8
.LBB9_40:                               ; =>This Inner Loop Header: Depth=1
	s_delay_alu instid0(VALU_DEP_1)
	v_add_f32_e32 v0, v1, v2
	global_atomic_cmpswap_b32 v0, v4, v[0:1], s[6:7] glc
	s_waitcnt vmcnt(0)
	v_cmp_eq_u32_e32 vcc_lo, v0, v1
	v_mov_b32_e32 v1, v0
	s_or_b32 s3, vcc_lo, s3
	s_delay_alu instid0(SALU_CYCLE_1)
	s_and_not1_b32 exec_lo, exec_lo, s3
	s_cbranch_execnz .LBB9_40
; %bb.41:
	s_or_b32 exec_lo, exec_lo, s3
.LBB9_42:
	s_delay_alu instid0(SALU_CYCLE_1)
	s_or_b32 exec_lo, exec_lo, s1
	v_bfrev_b32_e32 v2, 1
	s_mov_b32 s1, exec_lo
.LBB9_43:                               ; =>This Inner Loop Header: Depth=1
	s_delay_alu instid0(SALU_CYCLE_1) | instskip(SKIP_3) | instid1(SALU_CYCLE_1)
	s_ctz_i32_b32 s3, s1
	s_waitcnt lgkmcnt(0)
	v_readlane_b32 s6, v3, s3
	s_lshl_b32 s3, 1, s3
	s_and_not1_b32 s1, s1, s3
	s_delay_alu instid0(SALU_CYCLE_1) | instskip(NEXT) | instid1(VALU_DEP_1)
	s_cmp_lg_u32 s1, 0
	v_add_f32_e32 v2, s6, v2
	s_cbranch_scc1 .LBB9_43
; %bb.44:
	v_mbcnt_lo_u32_b32 v0, exec_lo, 0
	s_mov_b32 s1, 0
	s_mov_b32 s3, exec_lo
	s_delay_alu instid0(VALU_DEP_1)
	v_cmpx_eq_u32_e32 0, v0
	s_xor_b32 s3, exec_lo, s3
	s_cbranch_execz .LBB9_48
; %bb.45:
	v_mov_b32_e32 v3, 0
	global_load_b32 v1, v3, s[4:5]
.LBB9_46:                               ; =>This Inner Loop Header: Depth=1
	s_waitcnt vmcnt(0)
	v_add_f32_e32 v0, v1, v2
	global_atomic_cmpswap_b32 v0, v3, v[0:1], s[4:5] glc
	s_waitcnt vmcnt(0)
	v_cmp_eq_u32_e32 vcc_lo, v0, v1
	v_mov_b32_e32 v1, v0
	s_or_b32 s1, vcc_lo, s1
	s_delay_alu instid0(SALU_CYCLE_1)
	s_and_not1_b32 exec_lo, exec_lo, s1
	s_cbranch_execnz .LBB9_46
; %bb.47:
	s_or_b32 exec_lo, exec_lo, s1
.LBB9_48:
	s_delay_alu instid0(SALU_CYCLE_1) | instskip(NEXT) | instid1(SALU_CYCLE_1)
	s_or_b32 exec_lo, exec_lo, s0
	s_and_not1_b32 s13, s13, exec_lo
	s_or_b32 exec_lo, exec_lo, s2
	s_mov_b32 s0, 0
	s_and_saveexec_b32 s1, s13
	s_cbranch_execz .LBB9_3
.LBB9_49:
	s_cbranch_execnz .LBB9_53
; %bb.50:
	s_mov_b32 s0, exec_lo
	s_or_b32 exec_lo, exec_lo, s1
	s_and_saveexec_b32 s1, s12
	s_cbranch_execz .LBB9_4
.LBB9_51:
	s_cbranch_execnz .LBB9_55
; %bb.52:
	s_or_b32 s0, s0, exec_lo
	s_or_b32 exec_lo, exec_lo, s1
	s_and_saveexec_b32 s1, s0
	s_cbranch_execnz .LBB9_5
	s_branch .LBB9_6
.LBB9_53:
	s_trap 2
	s_sendmsg_rtn_b32 s0, sendmsg(MSG_RTN_GET_DOORBELL)
	s_mov_b32 ttmp2, m0
	s_waitcnt lgkmcnt(0)
	s_and_b32 s0, s0, 0x3ff
	s_delay_alu instid0(SALU_CYCLE_1) | instskip(NEXT) | instid1(SALU_CYCLE_1)
	s_bitset1_b32 s0, 10
	s_mov_b32 m0, s0
	s_sendmsg sendmsg(MSG_INTERRUPT)
	s_mov_b32 m0, ttmp2
.LBB9_54:                               ; =>This Inner Loop Header: Depth=1
	s_sethalt 5
	s_branch .LBB9_54
.LBB9_55:
	s_trap 2
	s_sendmsg_rtn_b32 s0, sendmsg(MSG_RTN_GET_DOORBELL)
	s_mov_b32 ttmp2, m0
	s_waitcnt lgkmcnt(0)
	s_and_b32 s0, s0, 0x3ff
	s_delay_alu instid0(SALU_CYCLE_1) | instskip(NEXT) | instid1(SALU_CYCLE_1)
	s_bitset1_b32 s0, 10
	s_mov_b32 m0, s0
	s_sendmsg sendmsg(MSG_INTERRUPT)
	s_mov_b32 m0, ttmp2
.LBB9_56:                               ; =>This Inner Loop Header: Depth=1
	s_sethalt 5
	s_branch .LBB9_56
	.section	.rodata,"a",@progbits
	.p2align	6, 0x0
	.amdhsa_kernel _ZN2at6native12_GLOBAL__N_125nll_loss2d_forward_kernelIfflEEvPT_S4_PKS3_PKlS6_iiil
		.amdhsa_group_segment_fixed_size 8192
		.amdhsa_private_segment_fixed_size 0
		.amdhsa_kernarg_size 320
		.amdhsa_user_sgpr_count 15
		.amdhsa_user_sgpr_dispatch_ptr 0
		.amdhsa_user_sgpr_queue_ptr 0
		.amdhsa_user_sgpr_kernarg_segment_ptr 1
		.amdhsa_user_sgpr_dispatch_id 0
		.amdhsa_user_sgpr_private_segment_size 0
		.amdhsa_wavefront_size32 1
		.amdhsa_uses_dynamic_stack 0
		.amdhsa_enable_private_segment 0
		.amdhsa_system_sgpr_workgroup_id_x 1
		.amdhsa_system_sgpr_workgroup_id_y 0
		.amdhsa_system_sgpr_workgroup_id_z 0
		.amdhsa_system_sgpr_workgroup_info 0
		.amdhsa_system_vgpr_workitem_id 0
		.amdhsa_next_free_vgpr 13
		.amdhsa_next_free_sgpr 30
		.amdhsa_reserve_vcc 1
		.amdhsa_float_round_mode_32 0
		.amdhsa_float_round_mode_16_64 0
		.amdhsa_float_denorm_mode_32 3
		.amdhsa_float_denorm_mode_16_64 3
		.amdhsa_dx10_clamp 1
		.amdhsa_ieee_mode 1
		.amdhsa_fp16_overflow 0
		.amdhsa_workgroup_processor_mode 1
		.amdhsa_memory_ordered 1
		.amdhsa_forward_progress 0
		.amdhsa_shared_vgpr_count 0
		.amdhsa_exception_fp_ieee_invalid_op 0
		.amdhsa_exception_fp_denorm_src 0
		.amdhsa_exception_fp_ieee_div_zero 0
		.amdhsa_exception_fp_ieee_overflow 0
		.amdhsa_exception_fp_ieee_underflow 0
		.amdhsa_exception_fp_ieee_inexact 0
		.amdhsa_exception_int_div_zero 0
	.end_amdhsa_kernel
	.section	.text._ZN2at6native12_GLOBAL__N_125nll_loss2d_forward_kernelIfflEEvPT_S4_PKS3_PKlS6_iiil,"axG",@progbits,_ZN2at6native12_GLOBAL__N_125nll_loss2d_forward_kernelIfflEEvPT_S4_PKS3_PKlS6_iiil,comdat
.Lfunc_end9:
	.size	_ZN2at6native12_GLOBAL__N_125nll_loss2d_forward_kernelIfflEEvPT_S4_PKS3_PKlS6_iiil, .Lfunc_end9-_ZN2at6native12_GLOBAL__N_125nll_loss2d_forward_kernelIfflEEvPT_S4_PKS3_PKlS6_iiil
                                        ; -- End function
	.section	.AMDGPU.csdata,"",@progbits
; Kernel info:
; codeLenInByte = 2068
; NumSgprs: 32
; NumVgprs: 13
; ScratchSize: 0
; MemoryBound: 0
; FloatMode: 240
; IeeeMode: 1
; LDSByteSize: 8192 bytes/workgroup (compile time only)
; SGPRBlocks: 3
; VGPRBlocks: 1
; NumSGPRsForWavesPerEU: 32
; NumVGPRsForWavesPerEU: 13
; Occupancy: 16
; WaveLimiterHint : 1
; COMPUTE_PGM_RSRC2:SCRATCH_EN: 0
; COMPUTE_PGM_RSRC2:USER_SGPR: 15
; COMPUTE_PGM_RSRC2:TRAP_HANDLER: 0
; COMPUTE_PGM_RSRC2:TGID_X_EN: 1
; COMPUTE_PGM_RSRC2:TGID_Y_EN: 0
; COMPUTE_PGM_RSRC2:TGID_Z_EN: 0
; COMPUTE_PGM_RSRC2:TIDIG_COMP_CNT: 0
	.section	.text._ZN2at6native12_GLOBAL__N_125nll_loss2d_forward_kernelIN3c104HalfEfiEEvPT_S6_PKS5_PKlS8_iiil,"axG",@progbits,_ZN2at6native12_GLOBAL__N_125nll_loss2d_forward_kernelIN3c104HalfEfiEEvPT_S6_PKS5_PKlS8_iiil,comdat
	.globl	_ZN2at6native12_GLOBAL__N_125nll_loss2d_forward_kernelIN3c104HalfEfiEEvPT_S6_PKS5_PKlS8_iiil ; -- Begin function _ZN2at6native12_GLOBAL__N_125nll_loss2d_forward_kernelIN3c104HalfEfiEEvPT_S6_PKS5_PKlS8_iiil
	.p2align	8
	.type	_ZN2at6native12_GLOBAL__N_125nll_loss2d_forward_kernelIN3c104HalfEfiEEvPT_S6_PKS5_PKlS8_iiil,@function
_ZN2at6native12_GLOBAL__N_125nll_loss2d_forward_kernelIN3c104HalfEfiEEvPT_S6_PKS5_PKlS8_iiil: ; @_ZN2at6native12_GLOBAL__N_125nll_loss2d_forward_kernelIN3c104HalfEfiEEvPT_S6_PKS5_PKlS8_iiil
; %bb.0:
	s_clause 0x1
	s_load_b128 s[16:19], s[0:1], 0x28
	s_load_b32 s12, s[0:1], 0x4c
	s_mov_b32 s21, -1
	s_mov_b32 s20, exec_lo
	v_mov_b32_e32 v4, 0
	s_waitcnt lgkmcnt(0)
	v_cvt_f32_u32_e32 v1, s18
	s_sub_i32 s3, 0, s18
	s_delay_alu instid0(VALU_DEP_1) | instskip(SKIP_2) | instid1(VALU_DEP_1)
	v_rcp_iflag_f32_e32 v1, v1
	s_waitcnt_depctr 0xfff
	v_mul_f32_e32 v1, 0x4f7ffffe, v1
	v_cvt_u32_f32_e32 v1, v1
	s_delay_alu instid0(VALU_DEP_1) | instskip(SKIP_1) | instid1(VALU_DEP_2)
	v_readfirstlane_b32 s2, v1
	v_mov_b32_e32 v1, 0
	s_mul_i32 s3, s3, s2
	s_delay_alu instid0(SALU_CYCLE_1) | instskip(NEXT) | instid1(SALU_CYCLE_1)
	s_mul_hi_u32 s3, s2, s3
	s_add_i32 s2, s2, s3
	s_delay_alu instid0(SALU_CYCLE_1) | instskip(NEXT) | instid1(SALU_CYCLE_1)
	s_mul_hi_u32 s4, s15, s2
	s_mul_i32 s2, s4, s18
	s_add_i32 s6, s4, 1
	s_sub_i32 s5, s15, s2
	s_load_b64 s[2:3], s[0:1], 0x20
	s_sub_i32 s7, s5, s18
	s_cmp_ge_u32 s5, s18
	s_cselect_b32 s13, s6, s4
	s_cselect_b32 s4, s7, s5
	s_add_i32 s14, s13, 1
	s_cmp_ge_u32 s4, s18
	s_load_b256 s[4:11], s[0:1], 0x0
	s_cselect_b32 s14, s14, s13
	s_and_b32 s19, s12, 0xffff
	s_mul_i32 s13, s14, s18
	s_mov_b32 s12, 0
	s_sub_i32 s15, s15, s13
	s_mov_b32 s13, 0
	s_mul_i32 s15, s15, s19
	s_delay_alu instid0(SALU_CYCLE_1) | instskip(NEXT) | instid1(VALU_DEP_1)
	v_add_nc_u32_e32 v7, s15, v0
	v_cmpx_gt_i32_e64 s17, v7
	s_cbranch_execnz .LBB10_7
; %bb.1:
	s_or_b32 exec_lo, exec_lo, s20
	s_and_saveexec_b32 s0, s21
	s_waitcnt lgkmcnt(0)
	s_xor_b32 s8, exec_lo, s0
	s_cbranch_execnz .LBB10_23
.LBB10_2:
	s_or_b32 exec_lo, exec_lo, s8
	s_mov_b32 s0, 0
	s_and_saveexec_b32 s1, s13
	s_cbranch_execnz .LBB10_49
.LBB10_3:
	s_or_b32 exec_lo, exec_lo, s1
	s_and_saveexec_b32 s1, s12
	s_cbranch_execnz .LBB10_51
.LBB10_4:
	s_or_b32 exec_lo, exec_lo, s1
	s_and_saveexec_b32 s1, s0
.LBB10_5:
	; divergent unreachable
.LBB10_6:
	s_endpgm
.LBB10_7:
	s_mul_i32 s21, s14, s17
	s_load_b64 s[12:13], s[0:1], 0x38
	v_add3_u32 v1, s15, s21, v0
	s_mul_i32 s14, s19, s18
	s_waitcnt lgkmcnt(0)
	s_cmp_lg_u64 s[2:3], 0
	v_dual_mov_b32 v8, 0 :: v_dual_mov_b32 v9, 0
	v_ashrrev_i32_e32 v2, 31, v1
	s_cselect_b32 s18, -1, 0
	s_ashr_i32 s15, s14, 31
	s_mul_i32 s21, s21, s16
	s_mov_b32 s22, 0
	v_lshlrev_b64 v[3:4], 3, v[1:2]
	v_mov_b32_e32 v2, 0
                                        ; implicit-def: $sgpr1
	s_delay_alu instid0(VALU_DEP_2) | instskip(NEXT) | instid1(VALU_DEP_3)
	v_add_co_u32 v3, vcc_lo, s10, v3
	v_add_co_ci_u32_e32 v4, vcc_lo, s11, v4, vcc_lo
	s_lshl_b64 s[10:11], s[14:15], 3
                                        ; implicit-def: $sgpr15
	s_branch .LBB10_9
.LBB10_8:                               ;   in Loop: Header=BB10_9 Depth=1
	s_or_b32 exec_lo, exec_lo, s23
	s_xor_b32 s23, s25, -1
	s_xor_b32 s24, s24, -1
	s_and_b32 s0, exec_lo, s0
	s_delay_alu instid0(SALU_CYCLE_1)
	s_or_b32 s22, s0, s22
	s_and_not1_b32 s0, s1, exec_lo
	s_and_b32 s1, s23, exec_lo
	s_and_not1_b32 s15, s15, exec_lo
	s_and_b32 s23, s24, exec_lo
	s_or_b32 s1, s0, s1
	s_or_b32 s15, s15, s23
	s_and_not1_b32 exec_lo, exec_lo, s22
	s_cbranch_execz .LBB10_20
.LBB10_9:                               ; =>This Inner Loop Header: Depth=1
	global_load_b64 v[5:6], v[3:4], off
	s_mov_b32 s26, -1
	s_mov_b32 s23, exec_lo
                                        ; implicit-def: $sgpr24
                                        ; implicit-def: $sgpr25
	s_waitcnt vmcnt(0)
	v_ashrrev_i32_e32 v6, 31, v5
	s_delay_alu instid0(VALU_DEP_1)
	v_cmpx_ne_u64_e64 s[12:13], v[5:6]
	s_cbranch_execz .LBB10_18
; %bb.10:                               ;   in Loop: Header=BB10_9 Depth=1
	v_cmp_lt_i32_e32 vcc_lo, -1, v5
	v_cmp_gt_i32_e64 s0, s16, v5
	s_mov_b32 s27, -1
	s_mov_b32 s26, 0
	s_mov_b32 s25, 0
	s_delay_alu instid0(VALU_DEP_1) | instskip(NEXT) | instid1(SALU_CYCLE_1)
	s_and_b32 s24, vcc_lo, s0
	s_and_saveexec_b32 s0, s24
	s_cbranch_execz .LBB10_17
; %bb.11:                               ;   in Loop: Header=BB10_9 Depth=1
	s_and_not1_b32 vcc_lo, exec_lo, s18
	s_cbranch_vccnz .LBB10_13
; %bb.12:                               ;   in Loop: Header=BB10_9 Depth=1
	v_lshlrev_b64 v[10:11], 1, v[5:6]
	s_delay_alu instid0(VALU_DEP_1) | instskip(NEXT) | instid1(VALU_DEP_2)
	v_add_co_u32 v10, vcc_lo, s2, v10
	v_add_co_ci_u32_e32 v11, vcc_lo, s3, v11, vcc_lo
	global_load_u16 v6, v[10:11], off
	s_branch .LBB10_14
.LBB10_13:                              ;   in Loop: Header=BB10_9 Depth=1
	v_mov_b32_e32 v6, 0x3c00
.LBB10_14:                              ;   in Loop: Header=BB10_9 Depth=1
	v_mul_lo_u32 v1, v5, s17
	s_mov_b32 s24, 0
	s_mov_b32 s25, exec_lo
	s_delay_alu instid0(VALU_DEP_1) | instskip(NEXT) | instid1(VALU_DEP_1)
	v_add3_u32 v1, s21, v7, v1
	v_cmpx_lt_i32_e32 -1, v1
	s_cbranch_execz .LBB10_16
; %bb.15:                               ;   in Loop: Header=BB10_9 Depth=1
	v_lshlrev_b64 v[10:11], 1, v[1:2]
	s_waitcnt vmcnt(0)
	v_cvt_f32_f16_e32 v5, v6
	s_mov_b32 s24, exec_lo
	s_delay_alu instid0(VALU_DEP_1) | instskip(NEXT) | instid1(VALU_DEP_3)
	v_add_f32_e32 v9, v9, v5
	v_add_co_u32 v10, vcc_lo, s8, v10
	v_add_co_ci_u32_e32 v11, vcc_lo, s9, v11, vcc_lo
	global_load_u16 v1, v[10:11], off
	s_waitcnt vmcnt(0)
	v_mul_f16_e32 v1, v6, v1
	s_delay_alu instid0(VALU_DEP_1) | instskip(NEXT) | instid1(VALU_DEP_1)
	v_cvt_f32_f16_e32 v1, v1
	v_sub_f32_e32 v8, v8, v1
.LBB10_16:                              ;   in Loop: Header=BB10_9 Depth=1
	s_or_b32 exec_lo, exec_lo, s25
	s_delay_alu instid0(SALU_CYCLE_1)
	s_mov_b32 s25, exec_lo
	s_xor_b32 s27, exec_lo, -1
	s_and_b32 s26, s24, exec_lo
.LBB10_17:                              ;   in Loop: Header=BB10_9 Depth=1
	s_or_b32 exec_lo, exec_lo, s0
	s_delay_alu instid0(SALU_CYCLE_1)
	s_and_b32 s25, s25, exec_lo
	s_and_b32 s24, s27, exec_lo
	s_or_not1_b32 s26, s26, exec_lo
.LBB10_18:                              ;   in Loop: Header=BB10_9 Depth=1
	s_or_b32 exec_lo, exec_lo, s23
	s_mov_b32 s0, -1
	s_and_saveexec_b32 s23, s26
	s_cbranch_execz .LBB10_8
; %bb.19:                               ;   in Loop: Header=BB10_9 Depth=1
	v_add_nc_u32_e32 v7, s14, v7
	v_add_co_u32 v3, s0, v3, s10
	s_delay_alu instid0(VALU_DEP_1) | instskip(NEXT) | instid1(VALU_DEP_3)
	v_add_co_ci_u32_e64 v4, s0, s11, v4, s0
	v_cmp_le_i32_e32 vcc_lo, s17, v7
	s_and_not1_b32 s25, s25, exec_lo
	s_and_not1_b32 s24, s24, exec_lo
	s_or_not1_b32 s0, vcc_lo, exec_lo
	s_branch .LBB10_8
.LBB10_20:
	s_or_b32 exec_lo, exec_lo, s22
	v_dual_mov_b32 v1, 0 :: v_dual_mov_b32 v4, 0
	s_mov_b32 s2, 0
	s_mov_b32 s8, -1
	s_mov_b32 s0, 0
	s_and_saveexec_b32 s3, s15
	s_delay_alu instid0(SALU_CYCLE_1)
	s_xor_b32 s3, exec_lo, s3
; %bb.21:
	v_dual_mov_b32 v1, v8 :: v_dual_mov_b32 v4, v9
	s_mov_b32 s0, exec_lo
	s_xor_b32 s8, exec_lo, -1
	s_and_b32 s2, s1, exec_lo
; %bb.22:
	s_or_b32 exec_lo, exec_lo, s3
	s_delay_alu instid0(SALU_CYCLE_1) | instskip(SKIP_4) | instid1(SALU_CYCLE_1)
	s_and_b32 s12, s8, exec_lo
	s_and_b32 s13, s0, exec_lo
	s_or_not1_b32 s21, s2, exec_lo
	s_or_b32 exec_lo, exec_lo, s20
	s_and_saveexec_b32 s0, s21
	s_xor_b32 s8, exec_lo, s0
	s_cbranch_execz .LBB10_2
.LBB10_23:
	s_waitcnt vmcnt(0)
	v_mbcnt_lo_u32_b32 v6, -1, 0
	v_and_b32_e32 v9, 31, v0
	s_barrier
	buffer_gl0_inv
	v_cmp_gt_u32_e32 vcc_lo, 16, v6
	v_cndmask_b32_e64 v2, 0, 1, vcc_lo
	v_cmp_gt_u32_e32 vcc_lo, 24, v6
	s_delay_alu instid0(VALU_DEP_2) | instskip(SKIP_2) | instid1(VALU_DEP_3)
	v_lshlrev_b32_e32 v2, 4, v2
	v_cndmask_b32_e64 v3, 0, 1, vcc_lo
	v_cmp_gt_u32_e32 vcc_lo, 28, v6
	v_add_lshl_u32 v2, v2, v6, 2
	s_delay_alu instid0(VALU_DEP_3)
	v_lshlrev_b32_e32 v3, 3, v3
	ds_bpermute_b32 v5, v2, v4
	v_add_lshl_u32 v3, v3, v6, 2
	s_waitcnt lgkmcnt(0)
	v_add_f32_e32 v5, v4, v5
	v_cndmask_b32_e64 v4, 0, 1, vcc_lo
	v_cmp_gt_u32_e32 vcc_lo, 30, v6
	ds_bpermute_b32 v7, v3, v5
	s_waitcnt lgkmcnt(0)
	v_dual_add_f32 v7, v5, v7 :: v_dual_lshlrev_b32 v4, 2, v4
	s_delay_alu instid0(VALU_DEP_1) | instskip(SKIP_4) | instid1(VALU_DEP_1)
	v_add_lshl_u32 v4, v4, v6, 2
	v_cndmask_b32_e64 v5, 0, 1, vcc_lo
	v_cmp_ne_u32_e32 vcc_lo, 31, v6
	ds_bpermute_b32 v8, v4, v7
	v_lshlrev_b32_e32 v5, 1, v5
	v_add_lshl_u32 v5, v5, v6, 2
	v_add_co_ci_u32_e32 v6, vcc_lo, 0, v6, vcc_lo
	v_cmp_eq_u32_e32 vcc_lo, 0, v9
	s_waitcnt lgkmcnt(0)
	s_delay_alu instid0(VALU_DEP_2)
	v_dual_add_f32 v7, v7, v8 :: v_dual_lshlrev_b32 v6, 2, v6
	ds_bpermute_b32 v8, v5, v7
	s_waitcnt lgkmcnt(0)
	v_add_f32_e32 v7, v7, v8
	ds_bpermute_b32 v8, v6, v7
	s_and_saveexec_b32 s0, vcc_lo
	s_cbranch_execz .LBB10_25
; %bb.24:
	s_waitcnt lgkmcnt(0)
	v_add_f32_e32 v7, v7, v8
	v_lshrrev_b32_e32 v8, 3, v0
	ds_store_b32 v8, v7 offset:4096
.LBB10_25:
	s_or_b32 exec_lo, exec_lo, s0
	s_lshr_b32 s0, s19, 5
	s_waitcnt lgkmcnt(0)
	v_mov_b32_e32 v8, 0
	v_cmp_gt_u32_e64 s0, s0, v0
	s_barrier
	buffer_gl0_inv
	s_and_saveexec_b32 s1, s0
	s_cbranch_execz .LBB10_27
; %bb.26:
	v_lshlrev_b32_e32 v7, 2, v9
	ds_load_b32 v8, v7 offset:4096
.LBB10_27:
	s_or_b32 exec_lo, exec_lo, s1
	v_cmp_gt_u32_e64 s1, 32, v0
	s_delay_alu instid0(VALU_DEP_1)
	s_and_saveexec_b32 s2, s1
	s_cbranch_execz .LBB10_29
; %bb.28:
	s_waitcnt lgkmcnt(0)
	ds_bpermute_b32 v7, v2, v8
	s_waitcnt lgkmcnt(0)
	v_add_f32_e32 v7, v8, v7
	ds_bpermute_b32 v8, v3, v7
	s_waitcnt lgkmcnt(0)
	v_add_f32_e32 v7, v7, v8
	;; [unrolled: 3-line block ×5, first 2 shown]
.LBB10_29:
	s_or_b32 exec_lo, exec_lo, s2
	ds_bpermute_b32 v7, v2, v1
	s_waitcnt lgkmcnt(0)
	s_barrier
	buffer_gl0_inv
	v_add_f32_e32 v1, v1, v7
	ds_bpermute_b32 v7, v3, v1
	s_waitcnt lgkmcnt(0)
	v_add_f32_e32 v1, v1, v7
	ds_bpermute_b32 v7, v4, v1
	s_waitcnt lgkmcnt(0)
	v_add_f32_e32 v1, v1, v7
	ds_bpermute_b32 v7, v5, v1
	s_waitcnt lgkmcnt(0)
	v_add_f32_e32 v1, v1, v7
	ds_bpermute_b32 v7, v6, v1
	s_and_saveexec_b32 s2, vcc_lo
	s_cbranch_execz .LBB10_31
; %bb.30:
	s_waitcnt lgkmcnt(0)
	v_add_f32_e32 v1, v1, v7
	v_lshrrev_b32_e32 v7, 3, v0
	ds_store_b32 v7, v1
.LBB10_31:
	s_or_b32 exec_lo, exec_lo, s2
	s_waitcnt lgkmcnt(0)
	v_mov_b32_e32 v7, 0
	s_barrier
	buffer_gl0_inv
	s_and_saveexec_b32 s2, s0
	s_cbranch_execz .LBB10_33
; %bb.32:
	v_lshlrev_b32_e32 v1, 2, v9
	ds_load_b32 v7, v1
.LBB10_33:
	s_or_b32 exec_lo, exec_lo, s2
	s_and_saveexec_b32 s0, s1
	s_cbranch_execz .LBB10_35
; %bb.34:
	s_waitcnt lgkmcnt(0)
	ds_bpermute_b32 v1, v2, v7
	s_waitcnt lgkmcnt(0)
	v_add_f32_e32 v1, v7, v1
	ds_bpermute_b32 v2, v3, v1
	s_waitcnt lgkmcnt(0)
	v_add_f32_e32 v1, v1, v2
	;; [unrolled: 3-line block ×5, first 2 shown]
.LBB10_35:
	s_or_b32 exec_lo, exec_lo, s0
	s_mov_b32 s3, 0
	s_mov_b32 s1, exec_lo
	v_cmpx_eq_u32_e32 0, v0
	s_cbranch_execz .LBB10_48
; %bb.36:
	s_and_b32 s2, s6, 2
	s_and_b32 s6, s6, -3
	s_cmp_eq_u64 s[2:3], 0
	s_load_b32 s9, s[6:7], 0x0
	v_cvt_f16_f32_e32 v2, v8
	v_mov_b32_e32 v3, 0
	s_cselect_b32 s0, -1, 0
	s_cmp_lg_u32 s2, 0
	s_cselect_b32 s2, -1, 0
	s_waitcnt lgkmcnt(0)
	v_mov_b32_e32 v1, s9
	s_set_inst_prefetch_distance 0x1
	s_branch .LBB10_38
	.p2align	6
.LBB10_37:                              ;   in Loop: Header=BB10_38 Depth=1
	global_atomic_cmpswap_b32 v0, v3, v[0:1], s[6:7] glc
	s_waitcnt vmcnt(0)
	v_cmp_eq_u32_e32 vcc_lo, v1, v0
	v_mov_b32_e32 v1, v0
	s_or_b32 s3, vcc_lo, s3
	s_delay_alu instid0(SALU_CYCLE_1)
	s_and_not1_b32 exec_lo, exec_lo, s3
	s_cbranch_execz .LBB10_42
.LBB10_38:                              ; =>This Inner Loop Header: Depth=1
	s_delay_alu instid0(VALU_DEP_1) | instskip(SKIP_1) | instid1(VALU_DEP_1)
	v_lshrrev_b32_e32 v0, 16, v1
	s_and_not1_b32 vcc_lo, exec_lo, s2
	v_cndmask_b32_e64 v0, v0, v1, s0
	s_delay_alu instid0(VALU_DEP_1) | instskip(NEXT) | instid1(VALU_DEP_1)
	v_add_f16_e32 v0, v2, v0
	v_and_b32_e32 v4, 0xffff, v0
	s_cbranch_vccnz .LBB10_40
; %bb.39:                               ;   in Loop: Header=BB10_38 Depth=1
	v_and_b32_e32 v0, 0xffff, v1
	s_delay_alu instid0(VALU_DEP_1)
	v_lshl_or_b32 v0, v4, 16, v0
	s_cbranch_execnz .LBB10_37
	s_branch .LBB10_41
	.p2align	6
.LBB10_40:                              ;   in Loop: Header=BB10_38 Depth=1
.LBB10_41:                              ;   in Loop: Header=BB10_38 Depth=1
	s_delay_alu instid0(VALU_DEP_1)
	v_and_or_b32 v0, 0xffff0000, v1, v4
	s_branch .LBB10_37
.LBB10_42:
	s_set_inst_prefetch_distance 0x2
	s_or_b32 exec_lo, exec_lo, s3
	v_mov_b32_e32 v2, 0
	s_and_b32 s2, s4, 2
	s_and_b32 s4, s4, -3
	s_mov_b32 s3, 0
	v_cvt_f16_f32_e32 v3, v7
	global_load_b32 v1, v2, s[4:5]
	s_cmp_eq_u64 s[2:3], 0
	s_cselect_b32 s0, -1, 0
	s_cmp_lg_u32 s2, 0
	s_cselect_b32 s2, -1, 0
	s_set_inst_prefetch_distance 0x1
	s_branch .LBB10_44
	.p2align	6
.LBB10_43:                              ;   in Loop: Header=BB10_44 Depth=1
	global_atomic_cmpswap_b32 v0, v2, v[0:1], s[4:5] glc
	s_waitcnt vmcnt(0)
	v_cmp_eq_u32_e32 vcc_lo, v1, v0
	v_mov_b32_e32 v1, v0
	s_or_b32 s3, vcc_lo, s3
	s_delay_alu instid0(SALU_CYCLE_1)
	s_and_not1_b32 exec_lo, exec_lo, s3
	s_cbranch_execz .LBB10_48
.LBB10_44:                              ; =>This Inner Loop Header: Depth=1
	s_waitcnt vmcnt(0)
	v_lshrrev_b32_e32 v0, 16, v1
	s_and_not1_b32 vcc_lo, exec_lo, s2
	s_delay_alu instid0(VALU_DEP_1) | instskip(NEXT) | instid1(VALU_DEP_1)
	v_cndmask_b32_e64 v0, v0, v1, s0
	v_add_f16_e32 v0, v3, v0
	s_delay_alu instid0(VALU_DEP_1)
	v_and_b32_e32 v4, 0xffff, v0
	s_cbranch_vccnz .LBB10_46
; %bb.45:                               ;   in Loop: Header=BB10_44 Depth=1
	v_and_b32_e32 v0, 0xffff, v1
	s_delay_alu instid0(VALU_DEP_1)
	v_lshl_or_b32 v0, v4, 16, v0
	s_cbranch_execnz .LBB10_43
	s_branch .LBB10_47
	.p2align	6
.LBB10_46:                              ;   in Loop: Header=BB10_44 Depth=1
.LBB10_47:                              ;   in Loop: Header=BB10_44 Depth=1
	s_delay_alu instid0(VALU_DEP_1)
	v_and_or_b32 v0, 0xffff0000, v1, v4
	s_branch .LBB10_43
.LBB10_48:
	s_set_inst_prefetch_distance 0x2
	s_or_b32 exec_lo, exec_lo, s1
	s_delay_alu instid0(SALU_CYCLE_1)
	s_and_not1_b32 s13, s13, exec_lo
	s_or_b32 exec_lo, exec_lo, s8
	s_mov_b32 s0, 0
	s_and_saveexec_b32 s1, s13
	s_cbranch_execz .LBB10_3
.LBB10_49:
	s_cbranch_execnz .LBB10_53
; %bb.50:
	s_mov_b32 s0, exec_lo
	s_or_b32 exec_lo, exec_lo, s1
	s_and_saveexec_b32 s1, s12
	s_cbranch_execz .LBB10_4
.LBB10_51:
	s_cbranch_execnz .LBB10_55
; %bb.52:
	s_or_b32 s0, s0, exec_lo
	s_or_b32 exec_lo, exec_lo, s1
	s_and_saveexec_b32 s1, s0
	s_cbranch_execnz .LBB10_5
	s_branch .LBB10_6
.LBB10_53:
	s_trap 2
	s_sendmsg_rtn_b32 s0, sendmsg(MSG_RTN_GET_DOORBELL)
	s_mov_b32 ttmp2, m0
	s_waitcnt lgkmcnt(0)
	s_and_b32 s0, s0, 0x3ff
	s_delay_alu instid0(SALU_CYCLE_1) | instskip(NEXT) | instid1(SALU_CYCLE_1)
	s_bitset1_b32 s0, 10
	s_mov_b32 m0, s0
	s_sendmsg sendmsg(MSG_INTERRUPT)
	s_mov_b32 m0, ttmp2
.LBB10_54:                              ; =>This Inner Loop Header: Depth=1
	s_sethalt 5
	s_branch .LBB10_54
.LBB10_55:
	s_trap 2
	s_sendmsg_rtn_b32 s0, sendmsg(MSG_RTN_GET_DOORBELL)
	s_mov_b32 ttmp2, m0
	s_waitcnt lgkmcnt(0)
	s_and_b32 s0, s0, 0x3ff
	s_delay_alu instid0(SALU_CYCLE_1) | instskip(NEXT) | instid1(SALU_CYCLE_1)
	s_bitset1_b32 s0, 10
	s_mov_b32 m0, s0
	s_sendmsg sendmsg(MSG_INTERRUPT)
	s_mov_b32 m0, ttmp2
.LBB10_56:                              ; =>This Inner Loop Header: Depth=1
	s_sethalt 5
	s_branch .LBB10_56
	.section	.rodata,"a",@progbits
	.p2align	6, 0x0
	.amdhsa_kernel _ZN2at6native12_GLOBAL__N_125nll_loss2d_forward_kernelIN3c104HalfEfiEEvPT_S6_PKS5_PKlS8_iiil
		.amdhsa_group_segment_fixed_size 8192
		.amdhsa_private_segment_fixed_size 0
		.amdhsa_kernarg_size 320
		.amdhsa_user_sgpr_count 15
		.amdhsa_user_sgpr_dispatch_ptr 0
		.amdhsa_user_sgpr_queue_ptr 0
		.amdhsa_user_sgpr_kernarg_segment_ptr 1
		.amdhsa_user_sgpr_dispatch_id 0
		.amdhsa_user_sgpr_private_segment_size 0
		.amdhsa_wavefront_size32 1
		.amdhsa_uses_dynamic_stack 0
		.amdhsa_enable_private_segment 0
		.amdhsa_system_sgpr_workgroup_id_x 1
		.amdhsa_system_sgpr_workgroup_id_y 0
		.amdhsa_system_sgpr_workgroup_id_z 0
		.amdhsa_system_sgpr_workgroup_info 0
		.amdhsa_system_vgpr_workitem_id 0
		.amdhsa_next_free_vgpr 12
		.amdhsa_next_free_sgpr 28
		.amdhsa_reserve_vcc 1
		.amdhsa_float_round_mode_32 0
		.amdhsa_float_round_mode_16_64 0
		.amdhsa_float_denorm_mode_32 3
		.amdhsa_float_denorm_mode_16_64 3
		.amdhsa_dx10_clamp 1
		.amdhsa_ieee_mode 1
		.amdhsa_fp16_overflow 0
		.amdhsa_workgroup_processor_mode 1
		.amdhsa_memory_ordered 1
		.amdhsa_forward_progress 0
		.amdhsa_shared_vgpr_count 0
		.amdhsa_exception_fp_ieee_invalid_op 0
		.amdhsa_exception_fp_denorm_src 0
		.amdhsa_exception_fp_ieee_div_zero 0
		.amdhsa_exception_fp_ieee_overflow 0
		.amdhsa_exception_fp_ieee_underflow 0
		.amdhsa_exception_fp_ieee_inexact 0
		.amdhsa_exception_int_div_zero 0
	.end_amdhsa_kernel
	.section	.text._ZN2at6native12_GLOBAL__N_125nll_loss2d_forward_kernelIN3c104HalfEfiEEvPT_S6_PKS5_PKlS8_iiil,"axG",@progbits,_ZN2at6native12_GLOBAL__N_125nll_loss2d_forward_kernelIN3c104HalfEfiEEvPT_S6_PKS5_PKlS8_iiil,comdat
.Lfunc_end10:
	.size	_ZN2at6native12_GLOBAL__N_125nll_loss2d_forward_kernelIN3c104HalfEfiEEvPT_S6_PKS5_PKlS8_iiil, .Lfunc_end10-_ZN2at6native12_GLOBAL__N_125nll_loss2d_forward_kernelIN3c104HalfEfiEEvPT_S6_PKS5_PKlS8_iiil
                                        ; -- End function
	.section	.AMDGPU.csdata,"",@progbits
; Kernel info:
; codeLenInByte = 2092
; NumSgprs: 30
; NumVgprs: 12
; ScratchSize: 0
; MemoryBound: 0
; FloatMode: 240
; IeeeMode: 1
; LDSByteSize: 8192 bytes/workgroup (compile time only)
; SGPRBlocks: 3
; VGPRBlocks: 1
; NumSGPRsForWavesPerEU: 30
; NumVGPRsForWavesPerEU: 12
; Occupancy: 16
; WaveLimiterHint : 1
; COMPUTE_PGM_RSRC2:SCRATCH_EN: 0
; COMPUTE_PGM_RSRC2:USER_SGPR: 15
; COMPUTE_PGM_RSRC2:TRAP_HANDLER: 0
; COMPUTE_PGM_RSRC2:TGID_X_EN: 1
; COMPUTE_PGM_RSRC2:TGID_Y_EN: 0
; COMPUTE_PGM_RSRC2:TGID_Z_EN: 0
; COMPUTE_PGM_RSRC2:TIDIG_COMP_CNT: 0
	.section	.text._ZN2at6native12_GLOBAL__N_138nll_loss2d_forward_size_average_kernelIN3c104HalfEEEvPT_PKS5_,"axG",@progbits,_ZN2at6native12_GLOBAL__N_138nll_loss2d_forward_size_average_kernelIN3c104HalfEEEvPT_PKS5_,comdat
	.globl	_ZN2at6native12_GLOBAL__N_138nll_loss2d_forward_size_average_kernelIN3c104HalfEEEvPT_PKS5_ ; -- Begin function _ZN2at6native12_GLOBAL__N_138nll_loss2d_forward_size_average_kernelIN3c104HalfEEEvPT_PKS5_
	.p2align	8
	.type	_ZN2at6native12_GLOBAL__N_138nll_loss2d_forward_size_average_kernelIN3c104HalfEEEvPT_PKS5_,@function
_ZN2at6native12_GLOBAL__N_138nll_loss2d_forward_size_average_kernelIN3c104HalfEEEvPT_PKS5_: ; @_ZN2at6native12_GLOBAL__N_138nll_loss2d_forward_size_average_kernelIN3c104HalfEEEvPT_PKS5_
; %bb.0:
	s_load_b128 s[0:3], s[0:1], 0x0
	v_mov_b32_e32 v0, 0
	s_waitcnt lgkmcnt(0)
	s_clause 0x1
	global_load_u16 v1, v0, s[2:3]
	global_load_u16 v2, v0, s[0:1]
	s_waitcnt vmcnt(1)
	v_cvt_f32_f16_e32 v3, v1
	s_waitcnt vmcnt(0)
	v_cvt_f32_f16_e32 v4, v2
	s_delay_alu instid0(VALU_DEP_2) | instskip(SKIP_2) | instid1(VALU_DEP_1)
	v_rcp_f32_e32 v3, v3
	s_waitcnt_depctr 0xfff
	v_mul_f32_e32 v4, v4, v3
	v_fma_mix_f32 v5, -v1, v4, v2 op_sel_hi:[1,0,1]
	s_delay_alu instid0(VALU_DEP_1) | instskip(NEXT) | instid1(VALU_DEP_1)
	v_fmac_f32_e32 v4, v5, v3
	v_fma_mix_f32 v5, -v1, v4, v2 op_sel_hi:[1,0,1]
	s_delay_alu instid0(VALU_DEP_1) | instskip(NEXT) | instid1(VALU_DEP_1)
	v_mul_f32_e32 v3, v5, v3
	v_and_b32_e32 v3, 0xff800000, v3
	s_delay_alu instid0(VALU_DEP_1) | instskip(NEXT) | instid1(VALU_DEP_1)
	v_add_f32_e32 v3, v3, v4
	v_cvt_f16_f32_e32 v3, v3
	s_delay_alu instid0(VALU_DEP_1)
	v_div_fixup_f16 v1, v3, v1, v2
	global_store_b16 v0, v1, s[0:1]
	s_nop 0
	s_sendmsg sendmsg(MSG_DEALLOC_VGPRS)
	s_endpgm
	.section	.rodata,"a",@progbits
	.p2align	6, 0x0
	.amdhsa_kernel _ZN2at6native12_GLOBAL__N_138nll_loss2d_forward_size_average_kernelIN3c104HalfEEEvPT_PKS5_
		.amdhsa_group_segment_fixed_size 0
		.amdhsa_private_segment_fixed_size 0
		.amdhsa_kernarg_size 16
		.amdhsa_user_sgpr_count 15
		.amdhsa_user_sgpr_dispatch_ptr 0
		.amdhsa_user_sgpr_queue_ptr 0
		.amdhsa_user_sgpr_kernarg_segment_ptr 1
		.amdhsa_user_sgpr_dispatch_id 0
		.amdhsa_user_sgpr_private_segment_size 0
		.amdhsa_wavefront_size32 1
		.amdhsa_uses_dynamic_stack 0
		.amdhsa_enable_private_segment 0
		.amdhsa_system_sgpr_workgroup_id_x 1
		.amdhsa_system_sgpr_workgroup_id_y 0
		.amdhsa_system_sgpr_workgroup_id_z 0
		.amdhsa_system_sgpr_workgroup_info 0
		.amdhsa_system_vgpr_workitem_id 0
		.amdhsa_next_free_vgpr 6
		.amdhsa_next_free_sgpr 4
		.amdhsa_reserve_vcc 0
		.amdhsa_float_round_mode_32 0
		.amdhsa_float_round_mode_16_64 0
		.amdhsa_float_denorm_mode_32 3
		.amdhsa_float_denorm_mode_16_64 3
		.amdhsa_dx10_clamp 1
		.amdhsa_ieee_mode 1
		.amdhsa_fp16_overflow 0
		.amdhsa_workgroup_processor_mode 1
		.amdhsa_memory_ordered 1
		.amdhsa_forward_progress 0
		.amdhsa_shared_vgpr_count 0
		.amdhsa_exception_fp_ieee_invalid_op 0
		.amdhsa_exception_fp_denorm_src 0
		.amdhsa_exception_fp_ieee_div_zero 0
		.amdhsa_exception_fp_ieee_overflow 0
		.amdhsa_exception_fp_ieee_underflow 0
		.amdhsa_exception_fp_ieee_inexact 0
		.amdhsa_exception_int_div_zero 0
	.end_amdhsa_kernel
	.section	.text._ZN2at6native12_GLOBAL__N_138nll_loss2d_forward_size_average_kernelIN3c104HalfEEEvPT_PKS5_,"axG",@progbits,_ZN2at6native12_GLOBAL__N_138nll_loss2d_forward_size_average_kernelIN3c104HalfEEEvPT_PKS5_,comdat
.Lfunc_end11:
	.size	_ZN2at6native12_GLOBAL__N_138nll_loss2d_forward_size_average_kernelIN3c104HalfEEEvPT_PKS5_, .Lfunc_end11-_ZN2at6native12_GLOBAL__N_138nll_loss2d_forward_size_average_kernelIN3c104HalfEEEvPT_PKS5_
                                        ; -- End function
	.section	.AMDGPU.csdata,"",@progbits
; Kernel info:
; codeLenInByte = 152
; NumSgprs: 4
; NumVgprs: 6
; ScratchSize: 0
; MemoryBound: 0
; FloatMode: 240
; IeeeMode: 1
; LDSByteSize: 0 bytes/workgroup (compile time only)
; SGPRBlocks: 0
; VGPRBlocks: 0
; NumSGPRsForWavesPerEU: 4
; NumVGPRsForWavesPerEU: 6
; Occupancy: 16
; WaveLimiterHint : 0
; COMPUTE_PGM_RSRC2:SCRATCH_EN: 0
; COMPUTE_PGM_RSRC2:USER_SGPR: 15
; COMPUTE_PGM_RSRC2:TRAP_HANDLER: 0
; COMPUTE_PGM_RSRC2:TGID_X_EN: 1
; COMPUTE_PGM_RSRC2:TGID_Y_EN: 0
; COMPUTE_PGM_RSRC2:TGID_Z_EN: 0
; COMPUTE_PGM_RSRC2:TIDIG_COMP_CNT: 0
	.section	.text._ZN2at6native12_GLOBAL__N_125nll_loss2d_forward_kernelIN3c104HalfEflEEvPT_S6_PKS5_PKlS8_iiil,"axG",@progbits,_ZN2at6native12_GLOBAL__N_125nll_loss2d_forward_kernelIN3c104HalfEflEEvPT_S6_PKS5_PKlS8_iiil,comdat
	.globl	_ZN2at6native12_GLOBAL__N_125nll_loss2d_forward_kernelIN3c104HalfEflEEvPT_S6_PKS5_PKlS8_iiil ; -- Begin function _ZN2at6native12_GLOBAL__N_125nll_loss2d_forward_kernelIN3c104HalfEflEEvPT_S6_PKS5_PKlS8_iiil
	.p2align	8
	.type	_ZN2at6native12_GLOBAL__N_125nll_loss2d_forward_kernelIN3c104HalfEflEEvPT_S6_PKS5_PKlS8_iiil,@function
_ZN2at6native12_GLOBAL__N_125nll_loss2d_forward_kernelIN3c104HalfEflEEvPT_S6_PKS5_PKlS8_iiil: ; @_ZN2at6native12_GLOBAL__N_125nll_loss2d_forward_kernelIN3c104HalfEflEEvPT_S6_PKS5_PKlS8_iiil
; %bb.0:
	s_clause 0x1
	s_load_b128 s[16:19], s[0:1], 0x28
	s_load_b32 s12, s[0:1], 0x4c
	v_mov_b32_e32 v3, 0
	s_mov_b32 s20, exec_lo
	v_mov_b32_e32 v4, 0
	s_waitcnt lgkmcnt(0)
	v_cvt_f32_u32_e32 v1, s18
	s_sub_i32 s3, 0, s18
	s_delay_alu instid0(VALU_DEP_1) | instskip(SKIP_2) | instid1(VALU_DEP_1)
	v_rcp_iflag_f32_e32 v1, v1
	s_waitcnt_depctr 0xfff
	v_mul_f32_e32 v1, 0x4f7ffffe, v1
	v_cvt_u32_f32_e32 v1, v1
	s_delay_alu instid0(VALU_DEP_1) | instskip(NEXT) | instid1(VALU_DEP_1)
	v_readfirstlane_b32 s2, v1
	s_mul_i32 s3, s3, s2
	s_delay_alu instid0(SALU_CYCLE_1) | instskip(NEXT) | instid1(SALU_CYCLE_1)
	s_mul_hi_u32 s3, s2, s3
	s_add_i32 s2, s2, s3
	s_delay_alu instid0(SALU_CYCLE_1) | instskip(NEXT) | instid1(SALU_CYCLE_1)
	s_mul_hi_u32 s4, s15, s2
	s_mul_i32 s2, s4, s18
	s_add_i32 s6, s4, 1
	s_sub_i32 s5, s15, s2
	s_load_b64 s[2:3], s[0:1], 0x20
	s_sub_i32 s7, s5, s18
	s_cmp_ge_u32 s5, s18
	s_cselect_b32 s13, s6, s4
	s_cselect_b32 s4, s7, s5
	s_add_i32 s14, s13, 1
	s_cmp_ge_u32 s4, s18
	s_load_b256 s[4:11], s[0:1], 0x0
	s_cselect_b32 s14, s14, s13
	s_and_b32 s19, s12, 0xffff
	s_mul_i32 s13, s14, s18
	s_delay_alu instid0(SALU_CYCLE_1) | instskip(SKIP_4) | instid1(VALU_DEP_1)
	s_sub_i32 s12, s15, s13
	s_mov_b32 s13, 0
	v_mad_u64_u32 v[1:2], null, s12, s19, v[0:1]
	s_mov_b32 s15, -1
	s_mov_b32 s12, 0
	v_cmpx_gt_i32_e64 s17, v1
	s_cbranch_execnz .LBB12_7
; %bb.1:
	s_or_b32 exec_lo, exec_lo, s20
	s_and_saveexec_b32 s0, s15
	s_waitcnt lgkmcnt(0)
	s_xor_b32 s8, exec_lo, s0
	s_cbranch_execnz .LBB12_23
.LBB12_2:
	s_or_b32 exec_lo, exec_lo, s8
	s_mov_b32 s0, 0
	s_and_saveexec_b32 s1, s13
	s_cbranch_execnz .LBB12_49
.LBB12_3:
	s_or_b32 exec_lo, exec_lo, s1
	s_and_saveexec_b32 s1, s12
	s_cbranch_execnz .LBB12_51
.LBB12_4:
	s_or_b32 exec_lo, exec_lo, s1
	s_and_saveexec_b32 s1, s0
.LBB12_5:
	; divergent unreachable
.LBB12_6:
	s_endpgm
.LBB12_7:
	s_load_b64 s[12:13], s[0:1], 0x38
	s_ashr_i32 s1, s17, 31
	v_ashrrev_i32_e32 v2, 31, v1
	s_mul_hi_u32 s0, s14, s17
	s_mul_i32 s15, s14, s1
	s_mov_b32 s21, s17
	s_add_i32 s23, s0, s15
	s_mul_i32 s22, s14, s17
	s_ashr_i32 s17, s16, 31
	s_waitcnt lgkmcnt(0)
	s_cmp_lg_u64 s[2:3], 0
	v_lshlrev_b64 v[5:6], 3, v[1:2]
	s_mul_i32 s14, s19, s18
	s_cselect_b32 s18, -1, 0
	s_lshl_b64 s[24:25], s[22:23], 3
	v_mad_u64_u32 v[3:4], null, s22, s16, v[1:2]
	s_add_u32 s0, s10, s24
	s_addc_u32 s10, s11, s25
	v_add_co_u32 v5, vcc_lo, s0, v5
	v_add_co_ci_u32_e32 v6, vcc_lo, s10, v6, vcc_lo
	s_mul_i32 s0, s22, s17
	s_mul_i32 s10, s23, s16
	v_dual_mov_b32 v2, 0 :: v_dual_mov_b32 v11, 0
	v_add3_u32 v4, s0, s10, v4
	s_ashr_i32 s15, s14, 31
	s_mov_b32 s24, 0
	s_lshl_b64 s[10:11], s[14:15], 3
                                        ; implicit-def: $sgpr23
                                        ; implicit-def: $sgpr22
	s_branch .LBB12_9
.LBB12_8:                               ;   in Loop: Header=BB12_9 Depth=1
	s_or_b32 exec_lo, exec_lo, s25
	s_xor_b32 s25, s27, -1
	s_xor_b32 s26, s26, -1
	s_and_b32 s0, exec_lo, s0
	s_delay_alu instid0(SALU_CYCLE_1)
	s_or_b32 s24, s0, s24
	s_and_not1_b32 s0, s22, exec_lo
	s_and_b32 s22, s25, exec_lo
	s_and_not1_b32 s23, s23, exec_lo
	s_and_b32 s25, s26, exec_lo
	s_or_b32 s22, s0, s22
	s_or_b32 s23, s23, s25
	s_and_not1_b32 exec_lo, exec_lo, s24
	s_cbranch_execz .LBB12_20
.LBB12_9:                               ; =>This Inner Loop Header: Depth=1
	global_load_b64 v[7:8], v[5:6], off
	s_mov_b32 s28, -1
	s_mov_b32 s25, exec_lo
                                        ; implicit-def: $sgpr26
                                        ; implicit-def: $sgpr27
	s_waitcnt vmcnt(0)
	v_cmpx_ne_u64_e64 s[12:13], v[7:8]
	s_cbranch_execz .LBB12_18
; %bb.10:                               ;   in Loop: Header=BB12_9 Depth=1
	v_cmp_lt_i64_e32 vcc_lo, -1, v[7:8]
	v_cmp_gt_i64_e64 s0, s[16:17], v[7:8]
	s_mov_b32 s29, -1
	s_mov_b32 s28, 0
	s_mov_b32 s27, 0
	s_delay_alu instid0(VALU_DEP_1) | instskip(NEXT) | instid1(SALU_CYCLE_1)
	s_and_b32 s26, vcc_lo, s0
	s_and_saveexec_b32 s0, s26
	s_cbranch_execz .LBB12_17
; %bb.11:                               ;   in Loop: Header=BB12_9 Depth=1
	s_and_not1_b32 vcc_lo, exec_lo, s18
	s_cbranch_vccnz .LBB12_13
; %bb.12:                               ;   in Loop: Header=BB12_9 Depth=1
	v_lshlrev_b64 v[9:10], 1, v[7:8]
	s_delay_alu instid0(VALU_DEP_1) | instskip(NEXT) | instid1(VALU_DEP_2)
	v_add_co_u32 v9, vcc_lo, s2, v9
	v_add_co_ci_u32_e32 v10, vcc_lo, s3, v10, vcc_lo
	global_load_u16 v12, v[9:10], off
	s_branch .LBB12_14
.LBB12_13:                              ;   in Loop: Header=BB12_9 Depth=1
	v_mov_b32_e32 v12, 0x3c00
.LBB12_14:                              ;   in Loop: Header=BB12_9 Depth=1
	v_mad_u64_u32 v[9:10], null, v7, s21, v[3:4]
	v_mul_lo_u32 v7, v7, s1
	v_mul_lo_u32 v8, v8, s21
	s_mov_b32 s26, 0
	s_mov_b32 s27, exec_lo
	s_delay_alu instid0(VALU_DEP_1) | instskip(NEXT) | instid1(VALU_DEP_1)
	v_add3_u32 v10, v8, v10, v7
	v_cmpx_lt_i64_e32 -1, v[9:10]
	s_cbranch_execz .LBB12_16
; %bb.15:                               ;   in Loop: Header=BB12_9 Depth=1
	v_lshlrev_b64 v[7:8], 1, v[9:10]
	s_mov_b32 s26, exec_lo
	s_delay_alu instid0(VALU_DEP_1) | instskip(NEXT) | instid1(VALU_DEP_2)
	v_add_co_u32 v7, vcc_lo, s8, v7
	v_add_co_ci_u32_e32 v8, vcc_lo, s9, v8, vcc_lo
	global_load_u16 v7, v[7:8], off
	s_waitcnt vmcnt(1)
	v_cvt_f32_f16_e32 v8, v12
	s_delay_alu instid0(VALU_DEP_1) | instskip(SKIP_2) | instid1(VALU_DEP_1)
	v_add_f32_e32 v11, v11, v8
	s_waitcnt vmcnt(0)
	v_mul_f16_e32 v7, v12, v7
	v_cvt_f32_f16_e32 v7, v7
	s_delay_alu instid0(VALU_DEP_1)
	v_sub_f32_e32 v2, v2, v7
.LBB12_16:                              ;   in Loop: Header=BB12_9 Depth=1
	s_or_b32 exec_lo, exec_lo, s27
	s_delay_alu instid0(SALU_CYCLE_1)
	s_mov_b32 s27, exec_lo
	s_xor_b32 s29, exec_lo, -1
	s_and_b32 s28, s26, exec_lo
.LBB12_17:                              ;   in Loop: Header=BB12_9 Depth=1
	s_or_b32 exec_lo, exec_lo, s0
	s_delay_alu instid0(SALU_CYCLE_1)
	s_and_b32 s27, s27, exec_lo
	s_and_b32 s26, s29, exec_lo
	s_or_not1_b32 s28, s28, exec_lo
.LBB12_18:                              ;   in Loop: Header=BB12_9 Depth=1
	s_or_b32 exec_lo, exec_lo, s25
	s_mov_b32 s0, -1
	s_and_saveexec_b32 s25, s28
	s_cbranch_execz .LBB12_8
; %bb.19:                               ;   in Loop: Header=BB12_9 Depth=1
	v_add_nc_u32_e32 v1, s14, v1
	v_add_co_u32 v5, vcc_lo, v5, s10
	v_add_co_ci_u32_e32 v6, vcc_lo, s11, v6, vcc_lo
	s_delay_alu instid0(VALU_DEP_3) | instskip(SKIP_1) | instid1(VALU_DEP_1)
	v_cmp_le_i32_e32 vcc_lo, s21, v1
	v_add_co_u32 v3, s0, v3, s14
	v_add_co_ci_u32_e64 v4, s0, s15, v4, s0
	s_and_not1_b32 s27, s27, exec_lo
	s_and_not1_b32 s26, s26, exec_lo
	s_or_not1_b32 s0, vcc_lo, exec_lo
	s_branch .LBB12_8
.LBB12_20:
	s_or_b32 exec_lo, exec_lo, s24
	v_dual_mov_b32 v3, 0 :: v_dual_mov_b32 v4, 0
	s_mov_b32 s1, 0
	s_mov_b32 s3, -1
	s_mov_b32 s0, 0
	s_and_saveexec_b32 s2, s23
	s_delay_alu instid0(SALU_CYCLE_1)
	s_xor_b32 s2, exec_lo, s2
; %bb.21:
	v_dual_mov_b32 v3, v2 :: v_dual_mov_b32 v4, v11
	s_mov_b32 s0, exec_lo
	s_xor_b32 s3, exec_lo, -1
	s_and_b32 s1, s22, exec_lo
; %bb.22:
	s_or_b32 exec_lo, exec_lo, s2
	s_delay_alu instid0(SALU_CYCLE_1) | instskip(SKIP_4) | instid1(SALU_CYCLE_1)
	s_and_b32 s12, s3, exec_lo
	s_and_b32 s13, s0, exec_lo
	s_or_not1_b32 s15, s1, exec_lo
	s_or_b32 exec_lo, exec_lo, s20
	s_and_saveexec_b32 s0, s15
	s_xor_b32 s8, exec_lo, s0
	s_cbranch_execz .LBB12_2
.LBB12_23:
	v_mbcnt_lo_u32_b32 v6, -1, 0
	s_waitcnt vmcnt(0)
	s_barrier
	buffer_gl0_inv
	v_cmp_gt_u32_e32 vcc_lo, 16, v6
	v_cndmask_b32_e64 v1, 0, 1, vcc_lo
	v_cmp_gt_u32_e32 vcc_lo, 24, v6
	s_delay_alu instid0(VALU_DEP_2) | instskip(SKIP_2) | instid1(VALU_DEP_3)
	v_lshlrev_b32_e32 v1, 4, v1
	v_cndmask_b32_e64 v2, 0, 1, vcc_lo
	v_cmp_gt_u32_e32 vcc_lo, 28, v6
	v_add_lshl_u32 v1, v1, v6, 2
	ds_bpermute_b32 v5, v1, v4
	s_waitcnt lgkmcnt(0)
	v_dual_add_f32 v5, v4, v5 :: v_dual_lshlrev_b32 v2, 3, v2
	s_delay_alu instid0(VALU_DEP_1)
	v_add_lshl_u32 v2, v2, v6, 2
	v_cndmask_b32_e64 v4, 0, 1, vcc_lo
	v_cmp_gt_u32_e32 vcc_lo, 30, v6
	ds_bpermute_b32 v7, v2, v5
	s_waitcnt lgkmcnt(0)
	v_dual_add_f32 v7, v5, v7 :: v_dual_lshlrev_b32 v4, 2, v4
	s_delay_alu instid0(VALU_DEP_1) | instskip(SKIP_4) | instid1(VALU_DEP_1)
	v_add_lshl_u32 v4, v4, v6, 2
	v_cndmask_b32_e64 v5, 0, 1, vcc_lo
	v_cmp_ne_u32_e32 vcc_lo, 31, v6
	ds_bpermute_b32 v8, v4, v7
	v_lshlrev_b32_e32 v5, 1, v5
	v_add_lshl_u32 v5, v5, v6, 2
	v_add_co_ci_u32_e32 v6, vcc_lo, 0, v6, vcc_lo
	s_waitcnt lgkmcnt(0)
	s_delay_alu instid0(VALU_DEP_1)
	v_dual_add_f32 v7, v7, v8 :: v_dual_lshlrev_b32 v6, 2, v6
	ds_bpermute_b32 v8, v5, v7
	s_waitcnt lgkmcnt(0)
	v_add_f32_e32 v7, v7, v8
	v_and_b32_e32 v8, 31, v0
	ds_bpermute_b32 v9, v6, v7
	v_cmp_eq_u32_e32 vcc_lo, 0, v8
	s_and_saveexec_b32 s0, vcc_lo
	s_cbranch_execz .LBB12_25
; %bb.24:
	s_waitcnt lgkmcnt(0)
	v_add_f32_e32 v7, v7, v9
	v_lshrrev_b32_e32 v9, 3, v0
	ds_store_b32 v9, v7 offset:4096
.LBB12_25:
	s_or_b32 exec_lo, exec_lo, s0
	s_lshr_b32 s0, s19, 5
	v_mov_b32_e32 v7, 0
	v_cmp_gt_u32_e64 s0, s0, v0
	s_waitcnt lgkmcnt(0)
	s_barrier
	buffer_gl0_inv
	s_and_saveexec_b32 s1, s0
	s_cbranch_execz .LBB12_27
; %bb.26:
	v_lshlrev_b32_e32 v7, 2, v8
	ds_load_b32 v7, v7 offset:4096
.LBB12_27:
	s_or_b32 exec_lo, exec_lo, s1
	v_cmp_gt_u32_e64 s1, 32, v0
	s_delay_alu instid0(VALU_DEP_1)
	s_and_saveexec_b32 s2, s1
	s_cbranch_execz .LBB12_29
; %bb.28:
	s_waitcnt lgkmcnt(0)
	ds_bpermute_b32 v9, v1, v7
	s_waitcnt lgkmcnt(0)
	v_add_f32_e32 v7, v7, v9
	ds_bpermute_b32 v9, v2, v7
	s_waitcnt lgkmcnt(0)
	v_add_f32_e32 v7, v7, v9
	;; [unrolled: 3-line block ×5, first 2 shown]
.LBB12_29:
	s_or_b32 exec_lo, exec_lo, s2
	ds_bpermute_b32 v9, v1, v3
	s_waitcnt lgkmcnt(0)
	s_barrier
	buffer_gl0_inv
	v_add_f32_e32 v3, v3, v9
	ds_bpermute_b32 v9, v2, v3
	s_waitcnt lgkmcnt(0)
	v_add_f32_e32 v3, v3, v9
	ds_bpermute_b32 v9, v4, v3
	s_waitcnt lgkmcnt(0)
	;; [unrolled: 3-line block ×3, first 2 shown]
	v_add_f32_e32 v3, v3, v9
	ds_bpermute_b32 v9, v6, v3
	s_and_saveexec_b32 s2, vcc_lo
	s_cbranch_execz .LBB12_31
; %bb.30:
	s_waitcnt lgkmcnt(0)
	v_add_f32_e32 v3, v3, v9
	v_lshrrev_b32_e32 v9, 3, v0
	ds_store_b32 v9, v3
.LBB12_31:
	s_or_b32 exec_lo, exec_lo, s2
	v_mov_b32_e32 v3, 0
	s_waitcnt lgkmcnt(0)
	s_barrier
	buffer_gl0_inv
	s_and_saveexec_b32 s2, s0
	s_cbranch_execz .LBB12_33
; %bb.32:
	v_lshlrev_b32_e32 v3, 2, v8
	ds_load_b32 v3, v3
.LBB12_33:
	s_or_b32 exec_lo, exec_lo, s2
	s_and_saveexec_b32 s0, s1
	s_cbranch_execz .LBB12_35
; %bb.34:
	s_waitcnt lgkmcnt(0)
	ds_bpermute_b32 v1, v1, v3
	s_waitcnt lgkmcnt(0)
	v_add_f32_e32 v1, v3, v1
	ds_bpermute_b32 v2, v2, v1
	s_waitcnt lgkmcnt(0)
	v_add_f32_e32 v1, v1, v2
	;; [unrolled: 3-line block ×5, first 2 shown]
.LBB12_35:
	s_or_b32 exec_lo, exec_lo, s0
	s_mov_b32 s3, 0
	s_mov_b32 s1, exec_lo
	v_cmpx_eq_u32_e32 0, v0
	s_cbranch_execz .LBB12_48
; %bb.36:
	s_and_b32 s2, s6, 2
	s_and_b32 s6, s6, -3
	s_cmp_eq_u64 s[2:3], 0
	s_load_b32 s9, s[6:7], 0x0
	v_cvt_f16_f32_e32 v2, v7
	s_cselect_b32 s0, -1, 0
	s_cmp_lg_u32 s2, 0
	v_mov_b32_e32 v4, 0
	s_cselect_b32 s2, -1, 0
	s_waitcnt lgkmcnt(0)
	v_mov_b32_e32 v1, s9
	s_set_inst_prefetch_distance 0x1
	s_branch .LBB12_38
	.p2align	6
.LBB12_37:                              ;   in Loop: Header=BB12_38 Depth=1
	global_atomic_cmpswap_b32 v0, v4, v[0:1], s[6:7] glc
	s_waitcnt vmcnt(0)
	v_cmp_eq_u32_e32 vcc_lo, v1, v0
	v_mov_b32_e32 v1, v0
	s_or_b32 s3, vcc_lo, s3
	s_delay_alu instid0(SALU_CYCLE_1)
	s_and_not1_b32 exec_lo, exec_lo, s3
	s_cbranch_execz .LBB12_42
.LBB12_38:                              ; =>This Inner Loop Header: Depth=1
	s_delay_alu instid0(VALU_DEP_1) | instskip(SKIP_1) | instid1(VALU_DEP_1)
	v_lshrrev_b32_e32 v0, 16, v1
	s_and_not1_b32 vcc_lo, exec_lo, s2
	v_cndmask_b32_e64 v0, v0, v1, s0
	s_delay_alu instid0(VALU_DEP_1) | instskip(NEXT) | instid1(VALU_DEP_1)
	v_add_f16_e32 v0, v2, v0
	v_and_b32_e32 v5, 0xffff, v0
	s_cbranch_vccnz .LBB12_40
; %bb.39:                               ;   in Loop: Header=BB12_38 Depth=1
	v_and_b32_e32 v0, 0xffff, v1
	s_delay_alu instid0(VALU_DEP_1)
	v_lshl_or_b32 v0, v5, 16, v0
	s_cbranch_execnz .LBB12_37
	s_branch .LBB12_41
	.p2align	6
.LBB12_40:                              ;   in Loop: Header=BB12_38 Depth=1
.LBB12_41:                              ;   in Loop: Header=BB12_38 Depth=1
	s_delay_alu instid0(VALU_DEP_1)
	v_and_or_b32 v0, 0xffff0000, v1, v5
	s_branch .LBB12_37
.LBB12_42:
	s_set_inst_prefetch_distance 0x2
	s_or_b32 exec_lo, exec_lo, s3
	v_mov_b32_e32 v2, 0
	s_and_b32 s2, s4, 2
	s_and_b32 s4, s4, -3
	s_mov_b32 s3, 0
	v_cvt_f16_f32_e32 v3, v3
	global_load_b32 v1, v2, s[4:5]
	s_cmp_eq_u64 s[2:3], 0
	s_cselect_b32 s0, -1, 0
	s_cmp_lg_u32 s2, 0
	s_cselect_b32 s2, -1, 0
	s_set_inst_prefetch_distance 0x1
	s_branch .LBB12_44
	.p2align	6
.LBB12_43:                              ;   in Loop: Header=BB12_44 Depth=1
	global_atomic_cmpswap_b32 v0, v2, v[0:1], s[4:5] glc
	s_waitcnt vmcnt(0)
	v_cmp_eq_u32_e32 vcc_lo, v1, v0
	v_mov_b32_e32 v1, v0
	s_or_b32 s3, vcc_lo, s3
	s_delay_alu instid0(SALU_CYCLE_1)
	s_and_not1_b32 exec_lo, exec_lo, s3
	s_cbranch_execz .LBB12_48
.LBB12_44:                              ; =>This Inner Loop Header: Depth=1
	s_waitcnt vmcnt(0)
	v_lshrrev_b32_e32 v0, 16, v1
	s_and_not1_b32 vcc_lo, exec_lo, s2
	s_delay_alu instid0(VALU_DEP_1) | instskip(NEXT) | instid1(VALU_DEP_1)
	v_cndmask_b32_e64 v0, v0, v1, s0
	v_add_f16_e32 v0, v3, v0
	s_delay_alu instid0(VALU_DEP_1)
	v_and_b32_e32 v4, 0xffff, v0
	s_cbranch_vccnz .LBB12_46
; %bb.45:                               ;   in Loop: Header=BB12_44 Depth=1
	v_and_b32_e32 v0, 0xffff, v1
	s_delay_alu instid0(VALU_DEP_1)
	v_lshl_or_b32 v0, v4, 16, v0
	s_cbranch_execnz .LBB12_43
	s_branch .LBB12_47
	.p2align	6
.LBB12_46:                              ;   in Loop: Header=BB12_44 Depth=1
.LBB12_47:                              ;   in Loop: Header=BB12_44 Depth=1
	s_delay_alu instid0(VALU_DEP_1)
	v_and_or_b32 v0, 0xffff0000, v1, v4
	s_branch .LBB12_43
.LBB12_48:
	s_set_inst_prefetch_distance 0x2
	s_or_b32 exec_lo, exec_lo, s1
	s_delay_alu instid0(SALU_CYCLE_1)
	s_and_not1_b32 s13, s13, exec_lo
	s_or_b32 exec_lo, exec_lo, s8
	s_mov_b32 s0, 0
	s_and_saveexec_b32 s1, s13
	s_cbranch_execz .LBB12_3
.LBB12_49:
	s_cbranch_execnz .LBB12_53
; %bb.50:
	s_mov_b32 s0, exec_lo
	s_or_b32 exec_lo, exec_lo, s1
	s_and_saveexec_b32 s1, s12
	s_cbranch_execz .LBB12_4
.LBB12_51:
	s_cbranch_execnz .LBB12_55
; %bb.52:
	s_or_b32 s0, s0, exec_lo
	s_or_b32 exec_lo, exec_lo, s1
	s_and_saveexec_b32 s1, s0
	s_cbranch_execnz .LBB12_5
	s_branch .LBB12_6
.LBB12_53:
	s_trap 2
	s_sendmsg_rtn_b32 s0, sendmsg(MSG_RTN_GET_DOORBELL)
	s_mov_b32 ttmp2, m0
	s_waitcnt lgkmcnt(0)
	s_and_b32 s0, s0, 0x3ff
	s_delay_alu instid0(SALU_CYCLE_1) | instskip(NEXT) | instid1(SALU_CYCLE_1)
	s_bitset1_b32 s0, 10
	s_mov_b32 m0, s0
	s_sendmsg sendmsg(MSG_INTERRUPT)
	s_mov_b32 m0, ttmp2
.LBB12_54:                              ; =>This Inner Loop Header: Depth=1
	s_sethalt 5
	s_branch .LBB12_54
.LBB12_55:
	s_trap 2
	s_sendmsg_rtn_b32 s0, sendmsg(MSG_RTN_GET_DOORBELL)
	s_mov_b32 ttmp2, m0
	s_waitcnt lgkmcnt(0)
	s_and_b32 s0, s0, 0x3ff
	s_delay_alu instid0(SALU_CYCLE_1) | instskip(NEXT) | instid1(SALU_CYCLE_1)
	s_bitset1_b32 s0, 10
	s_mov_b32 m0, s0
	s_sendmsg sendmsg(MSG_INTERRUPT)
	s_mov_b32 m0, ttmp2
.LBB12_56:                              ; =>This Inner Loop Header: Depth=1
	s_sethalt 5
	s_branch .LBB12_56
	.section	.rodata,"a",@progbits
	.p2align	6, 0x0
	.amdhsa_kernel _ZN2at6native12_GLOBAL__N_125nll_loss2d_forward_kernelIN3c104HalfEflEEvPT_S6_PKS5_PKlS8_iiil
		.amdhsa_group_segment_fixed_size 8192
		.amdhsa_private_segment_fixed_size 0
		.amdhsa_kernarg_size 320
		.amdhsa_user_sgpr_count 15
		.amdhsa_user_sgpr_dispatch_ptr 0
		.amdhsa_user_sgpr_queue_ptr 0
		.amdhsa_user_sgpr_kernarg_segment_ptr 1
		.amdhsa_user_sgpr_dispatch_id 0
		.amdhsa_user_sgpr_private_segment_size 0
		.amdhsa_wavefront_size32 1
		.amdhsa_uses_dynamic_stack 0
		.amdhsa_enable_private_segment 0
		.amdhsa_system_sgpr_workgroup_id_x 1
		.amdhsa_system_sgpr_workgroup_id_y 0
		.amdhsa_system_sgpr_workgroup_id_z 0
		.amdhsa_system_sgpr_workgroup_info 0
		.amdhsa_system_vgpr_workitem_id 0
		.amdhsa_next_free_vgpr 13
		.amdhsa_next_free_sgpr 30
		.amdhsa_reserve_vcc 1
		.amdhsa_float_round_mode_32 0
		.amdhsa_float_round_mode_16_64 0
		.amdhsa_float_denorm_mode_32 3
		.amdhsa_float_denorm_mode_16_64 3
		.amdhsa_dx10_clamp 1
		.amdhsa_ieee_mode 1
		.amdhsa_fp16_overflow 0
		.amdhsa_workgroup_processor_mode 1
		.amdhsa_memory_ordered 1
		.amdhsa_forward_progress 0
		.amdhsa_shared_vgpr_count 0
		.amdhsa_exception_fp_ieee_invalid_op 0
		.amdhsa_exception_fp_denorm_src 0
		.amdhsa_exception_fp_ieee_div_zero 0
		.amdhsa_exception_fp_ieee_overflow 0
		.amdhsa_exception_fp_ieee_underflow 0
		.amdhsa_exception_fp_ieee_inexact 0
		.amdhsa_exception_int_div_zero 0
	.end_amdhsa_kernel
	.section	.text._ZN2at6native12_GLOBAL__N_125nll_loss2d_forward_kernelIN3c104HalfEflEEvPT_S6_PKS5_PKlS8_iiil,"axG",@progbits,_ZN2at6native12_GLOBAL__N_125nll_loss2d_forward_kernelIN3c104HalfEflEEvPT_S6_PKS5_PKlS8_iiil,comdat
.Lfunc_end12:
	.size	_ZN2at6native12_GLOBAL__N_125nll_loss2d_forward_kernelIN3c104HalfEflEEvPT_S6_PKS5_PKlS8_iiil, .Lfunc_end12-_ZN2at6native12_GLOBAL__N_125nll_loss2d_forward_kernelIN3c104HalfEflEEvPT_S6_PKS5_PKlS8_iiil
                                        ; -- End function
	.section	.AMDGPU.csdata,"",@progbits
; Kernel info:
; codeLenInByte = 2156
; NumSgprs: 32
; NumVgprs: 13
; ScratchSize: 0
; MemoryBound: 0
; FloatMode: 240
; IeeeMode: 1
; LDSByteSize: 8192 bytes/workgroup (compile time only)
; SGPRBlocks: 3
; VGPRBlocks: 1
; NumSGPRsForWavesPerEU: 32
; NumVGPRsForWavesPerEU: 13
; Occupancy: 16
; WaveLimiterHint : 1
; COMPUTE_PGM_RSRC2:SCRATCH_EN: 0
; COMPUTE_PGM_RSRC2:USER_SGPR: 15
; COMPUTE_PGM_RSRC2:TRAP_HANDLER: 0
; COMPUTE_PGM_RSRC2:TGID_X_EN: 1
; COMPUTE_PGM_RSRC2:TGID_Y_EN: 0
; COMPUTE_PGM_RSRC2:TGID_Z_EN: 0
; COMPUTE_PGM_RSRC2:TIDIG_COMP_CNT: 0
	.section	.text._ZN2at6native12_GLOBAL__N_125nll_loss2d_forward_kernelIN3c108BFloat16EfiEEvPT_S6_PKS5_PKlS8_iiil,"axG",@progbits,_ZN2at6native12_GLOBAL__N_125nll_loss2d_forward_kernelIN3c108BFloat16EfiEEvPT_S6_PKS5_PKlS8_iiil,comdat
	.globl	_ZN2at6native12_GLOBAL__N_125nll_loss2d_forward_kernelIN3c108BFloat16EfiEEvPT_S6_PKS5_PKlS8_iiil ; -- Begin function _ZN2at6native12_GLOBAL__N_125nll_loss2d_forward_kernelIN3c108BFloat16EfiEEvPT_S6_PKS5_PKlS8_iiil
	.p2align	8
	.type	_ZN2at6native12_GLOBAL__N_125nll_loss2d_forward_kernelIN3c108BFloat16EfiEEvPT_S6_PKS5_PKlS8_iiil,@function
_ZN2at6native12_GLOBAL__N_125nll_loss2d_forward_kernelIN3c108BFloat16EfiEEvPT_S6_PKS5_PKlS8_iiil: ; @_ZN2at6native12_GLOBAL__N_125nll_loss2d_forward_kernelIN3c108BFloat16EfiEEvPT_S6_PKS5_PKlS8_iiil
; %bb.0:
	s_clause 0x1
	s_load_b128 s[16:19], s[0:1], 0x28
	s_load_b32 s12, s[0:1], 0x4c
	s_mov_b32 s21, -1
	s_mov_b32 s20, exec_lo
	v_mov_b32_e32 v2, 0
	s_waitcnt lgkmcnt(0)
	v_cvt_f32_u32_e32 v1, s18
	s_sub_i32 s3, 0, s18
	s_delay_alu instid0(VALU_DEP_1) | instskip(SKIP_2) | instid1(VALU_DEP_1)
	v_rcp_iflag_f32_e32 v1, v1
	s_waitcnt_depctr 0xfff
	v_mul_f32_e32 v1, 0x4f7ffffe, v1
	v_cvt_u32_f32_e32 v1, v1
	s_delay_alu instid0(VALU_DEP_1) | instskip(SKIP_1) | instid1(VALU_DEP_2)
	v_readfirstlane_b32 s2, v1
	v_mov_b32_e32 v1, 0
	s_mul_i32 s3, s3, s2
	s_delay_alu instid0(SALU_CYCLE_1) | instskip(NEXT) | instid1(SALU_CYCLE_1)
	s_mul_hi_u32 s3, s2, s3
	s_add_i32 s2, s2, s3
	s_delay_alu instid0(SALU_CYCLE_1) | instskip(NEXT) | instid1(SALU_CYCLE_1)
	s_mul_hi_u32 s4, s15, s2
	s_mul_i32 s2, s4, s18
	s_add_i32 s6, s4, 1
	s_sub_i32 s5, s15, s2
	s_load_b64 s[2:3], s[0:1], 0x20
	s_sub_i32 s7, s5, s18
	s_cmp_ge_u32 s5, s18
	s_cselect_b32 s13, s6, s4
	s_cselect_b32 s4, s7, s5
	s_add_i32 s14, s13, 1
	s_cmp_ge_u32 s4, s18
	s_load_b256 s[4:11], s[0:1], 0x0
	s_cselect_b32 s14, s14, s13
	s_and_b32 s19, s12, 0xffff
	s_mul_i32 s13, s14, s18
	s_mov_b32 s12, 0
	s_sub_i32 s15, s15, s13
	s_mov_b32 s13, 0
	s_mul_i32 s15, s15, s19
	s_delay_alu instid0(SALU_CYCLE_1) | instskip(NEXT) | instid1(VALU_DEP_1)
	v_add_nc_u32_e32 v7, s15, v0
	v_cmpx_gt_i32_e64 s17, v7
	s_cbranch_execnz .LBB13_7
; %bb.1:
	s_or_b32 exec_lo, exec_lo, s20
	s_and_saveexec_b32 s0, s21
	s_waitcnt lgkmcnt(0)
	s_xor_b32 s8, exec_lo, s0
	s_cbranch_execnz .LBB13_23
.LBB13_2:
	s_or_b32 exec_lo, exec_lo, s8
	s_mov_b32 s0, 0
	s_and_saveexec_b32 s1, s13
	s_cbranch_execnz .LBB13_49
.LBB13_3:
	s_or_b32 exec_lo, exec_lo, s1
	s_and_saveexec_b32 s1, s12
	s_cbranch_execnz .LBB13_51
.LBB13_4:
	s_or_b32 exec_lo, exec_lo, s1
	s_and_saveexec_b32 s1, s0
.LBB13_5:
	; divergent unreachable
.LBB13_6:
	s_endpgm
.LBB13_7:
	s_mul_i32 s21, s14, s17
	s_load_b64 s[12:13], s[0:1], 0x38
	v_add3_u32 v1, s15, s21, v0
	s_mul_i32 s14, s19, s18
	s_waitcnt lgkmcnt(0)
	s_cmp_lg_u64 s[2:3], 0
	v_dual_mov_b32 v8, 0 :: v_dual_mov_b32 v9, 0
	v_ashrrev_i32_e32 v2, 31, v1
	s_cselect_b32 s18, -1, 0
	s_ashr_i32 s15, s14, 31
	s_mul_i32 s21, s21, s16
	s_mov_b32 s22, 0
	v_lshlrev_b64 v[3:4], 3, v[1:2]
	v_mov_b32_e32 v2, 0
                                        ; implicit-def: $sgpr1
	s_delay_alu instid0(VALU_DEP_2) | instskip(NEXT) | instid1(VALU_DEP_3)
	v_add_co_u32 v3, vcc_lo, s10, v3
	v_add_co_ci_u32_e32 v4, vcc_lo, s11, v4, vcc_lo
	s_lshl_b64 s[10:11], s[14:15], 3
                                        ; implicit-def: $sgpr15
	s_branch .LBB13_9
.LBB13_8:                               ;   in Loop: Header=BB13_9 Depth=1
	s_or_b32 exec_lo, exec_lo, s23
	s_xor_b32 s23, s25, -1
	s_xor_b32 s24, s24, -1
	s_and_b32 s0, exec_lo, s0
	s_delay_alu instid0(SALU_CYCLE_1)
	s_or_b32 s22, s0, s22
	s_and_not1_b32 s0, s1, exec_lo
	s_and_b32 s1, s23, exec_lo
	s_and_not1_b32 s15, s15, exec_lo
	s_and_b32 s23, s24, exec_lo
	s_or_b32 s1, s0, s1
	s_or_b32 s15, s15, s23
	s_and_not1_b32 exec_lo, exec_lo, s22
	s_cbranch_execz .LBB13_20
.LBB13_9:                               ; =>This Inner Loop Header: Depth=1
	global_load_b64 v[5:6], v[3:4], off
	s_mov_b32 s26, -1
	s_mov_b32 s23, exec_lo
                                        ; implicit-def: $sgpr24
                                        ; implicit-def: $sgpr25
	s_waitcnt vmcnt(0)
	v_ashrrev_i32_e32 v6, 31, v5
	s_delay_alu instid0(VALU_DEP_1)
	v_cmpx_ne_u64_e64 s[12:13], v[5:6]
	s_cbranch_execz .LBB13_18
; %bb.10:                               ;   in Loop: Header=BB13_9 Depth=1
	v_cmp_lt_i32_e32 vcc_lo, -1, v5
	v_cmp_gt_i32_e64 s0, s16, v5
	s_mov_b32 s27, -1
	s_mov_b32 s26, 0
	s_mov_b32 s25, 0
	s_delay_alu instid0(VALU_DEP_1) | instskip(NEXT) | instid1(SALU_CYCLE_1)
	s_and_b32 s24, vcc_lo, s0
	s_and_saveexec_b32 s0, s24
	s_cbranch_execz .LBB13_17
; %bb.11:                               ;   in Loop: Header=BB13_9 Depth=1
	s_and_not1_b32 vcc_lo, exec_lo, s18
	s_cbranch_vccnz .LBB13_13
; %bb.12:                               ;   in Loop: Header=BB13_9 Depth=1
	v_lshlrev_b64 v[10:11], 1, v[5:6]
	s_delay_alu instid0(VALU_DEP_1) | instskip(NEXT) | instid1(VALU_DEP_2)
	v_add_co_u32 v10, vcc_lo, s2, v10
	v_add_co_ci_u32_e32 v11, vcc_lo, s3, v11, vcc_lo
	global_load_u16 v6, v[10:11], off
	s_branch .LBB13_14
.LBB13_13:                              ;   in Loop: Header=BB13_9 Depth=1
	v_mov_b32_e32 v6, 0x3f80
.LBB13_14:                              ;   in Loop: Header=BB13_9 Depth=1
	v_mul_lo_u32 v1, v5, s17
	s_mov_b32 s24, 0
	s_mov_b32 s25, exec_lo
	s_delay_alu instid0(VALU_DEP_1) | instskip(NEXT) | instid1(VALU_DEP_1)
	v_add3_u32 v1, s21, v7, v1
	v_cmpx_lt_i32_e32 -1, v1
	s_cbranch_execz .LBB13_16
; %bb.15:                               ;   in Loop: Header=BB13_9 Depth=1
	v_lshlrev_b64 v[10:11], 1, v[1:2]
	s_waitcnt vmcnt(0)
	v_lshlrev_b32_e32 v5, 16, v6
	s_mov_b32 s24, exec_lo
	s_delay_alu instid0(VALU_DEP_2) | instskip(NEXT) | instid1(VALU_DEP_3)
	v_add_co_u32 v10, vcc_lo, s8, v10
	v_add_co_ci_u32_e32 v11, vcc_lo, s9, v11, vcc_lo
	global_load_u16 v1, v[10:11], off
	s_waitcnt vmcnt(0)
	v_lshlrev_b32_e32 v1, 16, v1
	s_delay_alu instid0(VALU_DEP_1) | instskip(NEXT) | instid1(VALU_DEP_1)
	v_mul_f32_e32 v1, v5, v1
	v_bfe_u32 v6, v1, 16, 1
	s_delay_alu instid0(VALU_DEP_1) | instskip(NEXT) | instid1(VALU_DEP_1)
	v_add3_u32 v6, v1, v6, 0x7fff
	v_and_b32_e32 v6, 0xffff0000, v6
	v_cmp_o_f32_e32 vcc_lo, v1, v1
	s_delay_alu instid0(VALU_DEP_2) | instskip(NEXT) | instid1(VALU_DEP_1)
	v_cndmask_b32_e32 v1, 0x7fc00000, v6, vcc_lo
	v_sub_f32_e32 v8, v8, v1
	v_add_f32_e32 v9, v9, v5
.LBB13_16:                              ;   in Loop: Header=BB13_9 Depth=1
	s_or_b32 exec_lo, exec_lo, s25
	s_delay_alu instid0(SALU_CYCLE_1)
	s_mov_b32 s25, exec_lo
	s_xor_b32 s27, exec_lo, -1
	s_and_b32 s26, s24, exec_lo
.LBB13_17:                              ;   in Loop: Header=BB13_9 Depth=1
	s_or_b32 exec_lo, exec_lo, s0
	s_delay_alu instid0(SALU_CYCLE_1)
	s_and_b32 s25, s25, exec_lo
	s_and_b32 s24, s27, exec_lo
	s_or_not1_b32 s26, s26, exec_lo
.LBB13_18:                              ;   in Loop: Header=BB13_9 Depth=1
	s_or_b32 exec_lo, exec_lo, s23
	s_mov_b32 s0, -1
	s_and_saveexec_b32 s23, s26
	s_cbranch_execz .LBB13_8
; %bb.19:                               ;   in Loop: Header=BB13_9 Depth=1
	v_add_nc_u32_e32 v7, s14, v7
	v_add_co_u32 v3, s0, v3, s10
	s_delay_alu instid0(VALU_DEP_1) | instskip(NEXT) | instid1(VALU_DEP_3)
	v_add_co_ci_u32_e64 v4, s0, s11, v4, s0
	v_cmp_le_i32_e32 vcc_lo, s17, v7
	s_and_not1_b32 s25, s25, exec_lo
	s_and_not1_b32 s24, s24, exec_lo
	s_or_not1_b32 s0, vcc_lo, exec_lo
	s_branch .LBB13_8
.LBB13_20:
	s_or_b32 exec_lo, exec_lo, s22
	v_dual_mov_b32 v1, 0 :: v_dual_mov_b32 v2, 0
	s_mov_b32 s2, 0
	s_mov_b32 s8, -1
	s_mov_b32 s0, 0
	s_and_saveexec_b32 s3, s15
	s_delay_alu instid0(SALU_CYCLE_1)
	s_xor_b32 s3, exec_lo, s3
; %bb.21:
	v_dual_mov_b32 v1, v8 :: v_dual_mov_b32 v2, v9
	s_mov_b32 s0, exec_lo
	s_xor_b32 s8, exec_lo, -1
	s_and_b32 s2, s1, exec_lo
; %bb.22:
	s_or_b32 exec_lo, exec_lo, s3
	s_delay_alu instid0(SALU_CYCLE_1) | instskip(SKIP_4) | instid1(SALU_CYCLE_1)
	s_and_b32 s12, s8, exec_lo
	s_and_b32 s13, s0, exec_lo
	s_or_not1_b32 s21, s2, exec_lo
	s_or_b32 exec_lo, exec_lo, s20
	s_and_saveexec_b32 s0, s21
	s_xor_b32 s8, exec_lo, s0
	s_cbranch_execz .LBB13_2
.LBB13_23:
	v_mbcnt_lo_u32_b32 v7, -1, 0
	v_and_b32_e32 v9, 31, v0
	s_waitcnt vmcnt(0)
	s_barrier
	buffer_gl0_inv
	v_cmp_gt_u32_e32 vcc_lo, 16, v7
	v_cndmask_b32_e64 v3, 0, 1, vcc_lo
	v_cmp_gt_u32_e32 vcc_lo, 24, v7
	s_delay_alu instid0(VALU_DEP_2) | instskip(SKIP_2) | instid1(VALU_DEP_3)
	v_lshlrev_b32_e32 v3, 4, v3
	v_cndmask_b32_e64 v4, 0, 1, vcc_lo
	v_cmp_gt_u32_e32 vcc_lo, 28, v7
	v_add_lshl_u32 v3, v3, v7, 2
	s_delay_alu instid0(VALU_DEP_3)
	v_lshlrev_b32_e32 v4, 3, v4
	ds_bpermute_b32 v5, v3, v2
	v_add_lshl_u32 v4, v4, v7, 2
	s_waitcnt lgkmcnt(0)
	v_add_f32_e32 v2, v2, v5
	v_cndmask_b32_e64 v5, 0, 1, vcc_lo
	v_cmp_gt_u32_e32 vcc_lo, 30, v7
	ds_bpermute_b32 v6, v4, v2
	s_waitcnt lgkmcnt(0)
	v_dual_add_f32 v2, v2, v6 :: v_dual_lshlrev_b32 v5, 2, v5
	s_delay_alu instid0(VALU_DEP_1) | instskip(SKIP_4) | instid1(VALU_DEP_1)
	v_add_lshl_u32 v5, v5, v7, 2
	v_cndmask_b32_e64 v6, 0, 1, vcc_lo
	v_cmp_ne_u32_e32 vcc_lo, 31, v7
	ds_bpermute_b32 v8, v5, v2
	v_lshlrev_b32_e32 v6, 1, v6
	v_add_lshl_u32 v6, v6, v7, 2
	v_add_co_ci_u32_e32 v7, vcc_lo, 0, v7, vcc_lo
	v_cmp_eq_u32_e32 vcc_lo, 0, v9
	s_waitcnt lgkmcnt(0)
	s_delay_alu instid0(VALU_DEP_2)
	v_dual_add_f32 v2, v2, v8 :: v_dual_lshlrev_b32 v7, 2, v7
	ds_bpermute_b32 v8, v6, v2
	s_waitcnt lgkmcnt(0)
	v_add_f32_e32 v2, v2, v8
	ds_bpermute_b32 v8, v7, v2
	s_and_saveexec_b32 s0, vcc_lo
	s_cbranch_execz .LBB13_25
; %bb.24:
	s_waitcnt lgkmcnt(0)
	v_add_f32_e32 v2, v2, v8
	v_lshrrev_b32_e32 v8, 3, v0
	ds_store_b32 v8, v2 offset:4096
.LBB13_25:
	s_or_b32 exec_lo, exec_lo, s0
	s_lshr_b32 s0, s19, 5
	s_waitcnt lgkmcnt(0)
	v_mov_b32_e32 v8, 0
	v_cmp_gt_u32_e64 s0, s0, v0
	s_barrier
	buffer_gl0_inv
	s_and_saveexec_b32 s1, s0
	s_cbranch_execz .LBB13_27
; %bb.26:
	v_lshlrev_b32_e32 v2, 2, v9
	ds_load_b32 v8, v2 offset:4096
.LBB13_27:
	s_or_b32 exec_lo, exec_lo, s1
	v_cmp_gt_u32_e64 s1, 32, v0
	s_delay_alu instid0(VALU_DEP_1)
	s_and_saveexec_b32 s2, s1
	s_cbranch_execz .LBB13_29
; %bb.28:
	s_waitcnt lgkmcnt(0)
	ds_bpermute_b32 v2, v3, v8
	s_waitcnt lgkmcnt(0)
	v_add_f32_e32 v2, v8, v2
	ds_bpermute_b32 v8, v4, v2
	s_waitcnt lgkmcnt(0)
	v_add_f32_e32 v2, v2, v8
	;; [unrolled: 3-line block ×5, first 2 shown]
.LBB13_29:
	s_or_b32 exec_lo, exec_lo, s2
	ds_bpermute_b32 v2, v3, v1
	s_waitcnt lgkmcnt(0)
	s_barrier
	buffer_gl0_inv
	v_add_f32_e32 v1, v1, v2
	ds_bpermute_b32 v2, v4, v1
	s_waitcnt lgkmcnt(0)
	v_add_f32_e32 v1, v1, v2
	ds_bpermute_b32 v2, v5, v1
	s_waitcnt lgkmcnt(0)
	;; [unrolled: 3-line block ×3, first 2 shown]
	v_add_f32_e32 v1, v1, v2
	ds_bpermute_b32 v2, v7, v1
	s_and_saveexec_b32 s2, vcc_lo
	s_cbranch_execz .LBB13_31
; %bb.30:
	s_waitcnt lgkmcnt(0)
	v_add_f32_e32 v1, v1, v2
	v_lshrrev_b32_e32 v2, 3, v0
	ds_store_b32 v2, v1
.LBB13_31:
	s_or_b32 exec_lo, exec_lo, s2
	s_waitcnt lgkmcnt(0)
	v_mov_b32_e32 v2, 0
	s_barrier
	buffer_gl0_inv
	s_and_saveexec_b32 s2, s0
	s_cbranch_execz .LBB13_33
; %bb.32:
	v_lshlrev_b32_e32 v1, 2, v9
	ds_load_b32 v2, v1
.LBB13_33:
	s_or_b32 exec_lo, exec_lo, s2
	s_and_saveexec_b32 s0, s1
	s_cbranch_execz .LBB13_35
; %bb.34:
	s_waitcnt lgkmcnt(0)
	ds_bpermute_b32 v1, v3, v2
	s_waitcnt lgkmcnt(0)
	v_add_f32_e32 v1, v2, v1
	ds_bpermute_b32 v2, v4, v1
	s_waitcnt lgkmcnt(0)
	v_add_f32_e32 v1, v1, v2
	;; [unrolled: 3-line block ×5, first 2 shown]
.LBB13_35:
	s_or_b32 exec_lo, exec_lo, s0
	s_mov_b32 s3, 0
	s_mov_b32 s1, exec_lo
	v_cmpx_eq_u32_e32 0, v0
	s_cbranch_execz .LBB13_48
; %bb.36:
	s_and_b32 s2, s6, 2
	s_and_b32 s6, s6, -3
	v_bfe_u32 v0, v8, 16, 1
	s_load_b32 s9, s[6:7], 0x0
	v_cmp_o_f32_e32 vcc_lo, v8, v8
	s_cmp_eq_u64 s[2:3], 0
	v_mov_b32_e32 v4, 0
	v_add3_u32 v0, v8, v0, 0x7fff
	s_cselect_b32 s0, -1, 0
	s_cmp_lg_u32 s2, 0
	s_cselect_b32 s2, -1, 0
	s_waitcnt lgkmcnt(0)
	v_dual_mov_b32 v1, s9 :: v_dual_and_b32 v0, 0xffff0000, v0
	s_delay_alu instid0(VALU_DEP_1)
	v_cndmask_b32_e32 v3, 0x7fc00000, v0, vcc_lo
	s_set_inst_prefetch_distance 0x1
	s_branch .LBB13_38
	.p2align	6
.LBB13_37:                              ;   in Loop: Header=BB13_38 Depth=1
	global_atomic_cmpswap_b32 v0, v4, v[0:1], s[6:7] glc
	s_waitcnt vmcnt(0)
	v_cmp_eq_u32_e32 vcc_lo, v1, v0
	v_mov_b32_e32 v1, v0
	s_or_b32 s3, vcc_lo, s3
	s_delay_alu instid0(SALU_CYCLE_1)
	s_and_not1_b32 exec_lo, exec_lo, s3
	s_cbranch_execz .LBB13_42
.LBB13_38:                              ; =>This Inner Loop Header: Depth=1
	s_delay_alu instid0(VALU_DEP_1) | instskip(NEXT) | instid1(VALU_DEP_1)
	v_lshrrev_b32_e32 v0, 16, v1
	v_cndmask_b32_e64 v0, v0, v1, s0
	s_delay_alu instid0(VALU_DEP_1) | instskip(NEXT) | instid1(VALU_DEP_1)
	v_lshlrev_b32_e32 v0, 16, v0
	v_add_f32_e32 v0, v3, v0
	s_delay_alu instid0(VALU_DEP_1) | instskip(SKIP_1) | instid1(VALU_DEP_2)
	v_bfe_u32 v5, v0, 16, 1
	v_cmp_o_f32_e32 vcc_lo, v0, v0
	v_add3_u32 v5, v0, v5, 0x7fff
	s_delay_alu instid0(VALU_DEP_1) | instskip(NEXT) | instid1(VALU_DEP_1)
	v_lshrrev_b32_e32 v5, 16, v5
	v_cndmask_b32_e32 v5, 0x7fc0, v5, vcc_lo
	s_and_not1_b32 vcc_lo, exec_lo, s2
	s_cbranch_vccnz .LBB13_40
; %bb.39:                               ;   in Loop: Header=BB13_38 Depth=1
	v_and_b32_e32 v0, 0xffff, v1
	s_delay_alu instid0(VALU_DEP_1)
	v_lshl_or_b32 v0, v5, 16, v0
	s_cbranch_execnz .LBB13_37
	s_branch .LBB13_41
	.p2align	6
.LBB13_40:                              ;   in Loop: Header=BB13_38 Depth=1
.LBB13_41:                              ;   in Loop: Header=BB13_38 Depth=1
	s_delay_alu instid0(VALU_DEP_1)
	v_and_or_b32 v0, 0xffff0000, v1, v5
	s_branch .LBB13_37
.LBB13_42:
	s_set_inst_prefetch_distance 0x2
	s_or_b32 exec_lo, exec_lo, s3
	v_bfe_u32 v0, v2, 16, 1
	s_and_b32 s2, s4, 2
	s_and_b32 s4, s4, -3
	v_cmp_o_f32_e32 vcc_lo, v2, v2
	s_mov_b32 s3, 0
	v_add3_u32 v0, v2, v0, 0x7fff
	v_mov_b32_e32 v3, 0
	s_cmp_eq_u64 s[2:3], 0
	s_cselect_b32 s0, -1, 0
	s_delay_alu instid0(VALU_DEP_2)
	v_and_b32_e32 v0, 0xffff0000, v0
	global_load_b32 v1, v3, s[4:5]
	s_cmp_lg_u32 s2, 0
	s_cselect_b32 s2, -1, 0
	v_cndmask_b32_e32 v2, 0x7fc00000, v0, vcc_lo
	s_set_inst_prefetch_distance 0x1
	s_branch .LBB13_44
	.p2align	6
.LBB13_43:                              ;   in Loop: Header=BB13_44 Depth=1
	global_atomic_cmpswap_b32 v0, v3, v[0:1], s[4:5] glc
	s_waitcnt vmcnt(0)
	v_cmp_eq_u32_e32 vcc_lo, v1, v0
	v_mov_b32_e32 v1, v0
	s_or_b32 s3, vcc_lo, s3
	s_delay_alu instid0(SALU_CYCLE_1)
	s_and_not1_b32 exec_lo, exec_lo, s3
	s_cbranch_execz .LBB13_48
.LBB13_44:                              ; =>This Inner Loop Header: Depth=1
	s_waitcnt vmcnt(0)
	v_lshrrev_b32_e32 v0, 16, v1
	s_delay_alu instid0(VALU_DEP_1) | instskip(NEXT) | instid1(VALU_DEP_1)
	v_cndmask_b32_e64 v0, v0, v1, s0
	v_lshlrev_b32_e32 v0, 16, v0
	s_delay_alu instid0(VALU_DEP_1) | instskip(NEXT) | instid1(VALU_DEP_1)
	v_add_f32_e32 v0, v2, v0
	v_bfe_u32 v4, v0, 16, 1
	v_cmp_o_f32_e32 vcc_lo, v0, v0
	s_delay_alu instid0(VALU_DEP_2) | instskip(NEXT) | instid1(VALU_DEP_1)
	v_add3_u32 v4, v0, v4, 0x7fff
	v_lshrrev_b32_e32 v4, 16, v4
	s_delay_alu instid0(VALU_DEP_1)
	v_cndmask_b32_e32 v4, 0x7fc0, v4, vcc_lo
	s_and_not1_b32 vcc_lo, exec_lo, s2
	s_cbranch_vccnz .LBB13_46
; %bb.45:                               ;   in Loop: Header=BB13_44 Depth=1
	v_and_b32_e32 v0, 0xffff, v1
	s_delay_alu instid0(VALU_DEP_1)
	v_lshl_or_b32 v0, v4, 16, v0
	s_cbranch_execnz .LBB13_43
	s_branch .LBB13_47
	.p2align	6
.LBB13_46:                              ;   in Loop: Header=BB13_44 Depth=1
.LBB13_47:                              ;   in Loop: Header=BB13_44 Depth=1
	s_delay_alu instid0(VALU_DEP_1)
	v_and_or_b32 v0, 0xffff0000, v1, v4
	s_branch .LBB13_43
.LBB13_48:
	s_set_inst_prefetch_distance 0x2
	s_or_b32 exec_lo, exec_lo, s1
	s_delay_alu instid0(SALU_CYCLE_1)
	s_and_not1_b32 s13, s13, exec_lo
	s_or_b32 exec_lo, exec_lo, s8
	s_mov_b32 s0, 0
	s_and_saveexec_b32 s1, s13
	s_cbranch_execz .LBB13_3
.LBB13_49:
	s_cbranch_execnz .LBB13_53
; %bb.50:
	s_mov_b32 s0, exec_lo
	s_or_b32 exec_lo, exec_lo, s1
	s_and_saveexec_b32 s1, s12
	s_cbranch_execz .LBB13_4
.LBB13_51:
	s_cbranch_execnz .LBB13_55
; %bb.52:
	s_or_b32 s0, s0, exec_lo
	s_or_b32 exec_lo, exec_lo, s1
	s_and_saveexec_b32 s1, s0
	s_cbranch_execnz .LBB13_5
	s_branch .LBB13_6
.LBB13_53:
	s_trap 2
	s_sendmsg_rtn_b32 s0, sendmsg(MSG_RTN_GET_DOORBELL)
	s_mov_b32 ttmp2, m0
	s_waitcnt lgkmcnt(0)
	s_and_b32 s0, s0, 0x3ff
	s_delay_alu instid0(SALU_CYCLE_1) | instskip(NEXT) | instid1(SALU_CYCLE_1)
	s_bitset1_b32 s0, 10
	s_mov_b32 m0, s0
	s_sendmsg sendmsg(MSG_INTERRUPT)
	s_mov_b32 m0, ttmp2
.LBB13_54:                              ; =>This Inner Loop Header: Depth=1
	s_sethalt 5
	s_branch .LBB13_54
.LBB13_55:
	s_trap 2
	s_sendmsg_rtn_b32 s0, sendmsg(MSG_RTN_GET_DOORBELL)
	s_mov_b32 ttmp2, m0
	s_waitcnt lgkmcnt(0)
	s_and_b32 s0, s0, 0x3ff
	s_delay_alu instid0(SALU_CYCLE_1) | instskip(NEXT) | instid1(SALU_CYCLE_1)
	s_bitset1_b32 s0, 10
	s_mov_b32 m0, s0
	s_sendmsg sendmsg(MSG_INTERRUPT)
	s_mov_b32 m0, ttmp2
.LBB13_56:                              ; =>This Inner Loop Header: Depth=1
	s_sethalt 5
	s_branch .LBB13_56
	.section	.rodata,"a",@progbits
	.p2align	6, 0x0
	.amdhsa_kernel _ZN2at6native12_GLOBAL__N_125nll_loss2d_forward_kernelIN3c108BFloat16EfiEEvPT_S6_PKS5_PKlS8_iiil
		.amdhsa_group_segment_fixed_size 8192
		.amdhsa_private_segment_fixed_size 0
		.amdhsa_kernarg_size 320
		.amdhsa_user_sgpr_count 15
		.amdhsa_user_sgpr_dispatch_ptr 0
		.amdhsa_user_sgpr_queue_ptr 0
		.amdhsa_user_sgpr_kernarg_segment_ptr 1
		.amdhsa_user_sgpr_dispatch_id 0
		.amdhsa_user_sgpr_private_segment_size 0
		.amdhsa_wavefront_size32 1
		.amdhsa_uses_dynamic_stack 0
		.amdhsa_enable_private_segment 0
		.amdhsa_system_sgpr_workgroup_id_x 1
		.amdhsa_system_sgpr_workgroup_id_y 0
		.amdhsa_system_sgpr_workgroup_id_z 0
		.amdhsa_system_sgpr_workgroup_info 0
		.amdhsa_system_vgpr_workitem_id 0
		.amdhsa_next_free_vgpr 12
		.amdhsa_next_free_sgpr 28
		.amdhsa_reserve_vcc 1
		.amdhsa_float_round_mode_32 0
		.amdhsa_float_round_mode_16_64 0
		.amdhsa_float_denorm_mode_32 3
		.amdhsa_float_denorm_mode_16_64 3
		.amdhsa_dx10_clamp 1
		.amdhsa_ieee_mode 1
		.amdhsa_fp16_overflow 0
		.amdhsa_workgroup_processor_mode 1
		.amdhsa_memory_ordered 1
		.amdhsa_forward_progress 0
		.amdhsa_shared_vgpr_count 0
		.amdhsa_exception_fp_ieee_invalid_op 0
		.amdhsa_exception_fp_denorm_src 0
		.amdhsa_exception_fp_ieee_div_zero 0
		.amdhsa_exception_fp_ieee_overflow 0
		.amdhsa_exception_fp_ieee_underflow 0
		.amdhsa_exception_fp_ieee_inexact 0
		.amdhsa_exception_int_div_zero 0
	.end_amdhsa_kernel
	.section	.text._ZN2at6native12_GLOBAL__N_125nll_loss2d_forward_kernelIN3c108BFloat16EfiEEvPT_S6_PKS5_PKlS8_iiil,"axG",@progbits,_ZN2at6native12_GLOBAL__N_125nll_loss2d_forward_kernelIN3c108BFloat16EfiEEvPT_S6_PKS5_PKlS8_iiil,comdat
.Lfunc_end13:
	.size	_ZN2at6native12_GLOBAL__N_125nll_loss2d_forward_kernelIN3c108BFloat16EfiEEvPT_S6_PKS5_PKlS8_iiil, .Lfunc_end13-_ZN2at6native12_GLOBAL__N_125nll_loss2d_forward_kernelIN3c108BFloat16EfiEEvPT_S6_PKS5_PKlS8_iiil
                                        ; -- End function
	.section	.AMDGPU.csdata,"",@progbits
; Kernel info:
; codeLenInByte = 2300
; NumSgprs: 30
; NumVgprs: 12
; ScratchSize: 0
; MemoryBound: 0
; FloatMode: 240
; IeeeMode: 1
; LDSByteSize: 8192 bytes/workgroup (compile time only)
; SGPRBlocks: 3
; VGPRBlocks: 1
; NumSGPRsForWavesPerEU: 30
; NumVGPRsForWavesPerEU: 12
; Occupancy: 16
; WaveLimiterHint : 1
; COMPUTE_PGM_RSRC2:SCRATCH_EN: 0
; COMPUTE_PGM_RSRC2:USER_SGPR: 15
; COMPUTE_PGM_RSRC2:TRAP_HANDLER: 0
; COMPUTE_PGM_RSRC2:TGID_X_EN: 1
; COMPUTE_PGM_RSRC2:TGID_Y_EN: 0
; COMPUTE_PGM_RSRC2:TGID_Z_EN: 0
; COMPUTE_PGM_RSRC2:TIDIG_COMP_CNT: 0
	.section	.text._ZN2at6native12_GLOBAL__N_138nll_loss2d_forward_size_average_kernelIN3c108BFloat16EEEvPT_PKS5_,"axG",@progbits,_ZN2at6native12_GLOBAL__N_138nll_loss2d_forward_size_average_kernelIN3c108BFloat16EEEvPT_PKS5_,comdat
	.globl	_ZN2at6native12_GLOBAL__N_138nll_loss2d_forward_size_average_kernelIN3c108BFloat16EEEvPT_PKS5_ ; -- Begin function _ZN2at6native12_GLOBAL__N_138nll_loss2d_forward_size_average_kernelIN3c108BFloat16EEEvPT_PKS5_
	.p2align	8
	.type	_ZN2at6native12_GLOBAL__N_138nll_loss2d_forward_size_average_kernelIN3c108BFloat16EEEvPT_PKS5_,@function
_ZN2at6native12_GLOBAL__N_138nll_loss2d_forward_size_average_kernelIN3c108BFloat16EEEvPT_PKS5_: ; @_ZN2at6native12_GLOBAL__N_138nll_loss2d_forward_size_average_kernelIN3c108BFloat16EEEvPT_PKS5_
; %bb.0:
	s_load_b128 s[0:3], s[0:1], 0x0
	v_mov_b32_e32 v0, 0
	s_waitcnt lgkmcnt(0)
	s_clause 0x1
	global_load_u16 v1, v0, s[0:1]
	global_load_u16 v2, v0, s[2:3]
	s_waitcnt vmcnt(1)
	v_lshlrev_b32_e32 v1, 16, v1
	s_waitcnt vmcnt(0)
	v_lshlrev_b32_e32 v2, 16, v2
	s_delay_alu instid0(VALU_DEP_1) | instskip(NEXT) | instid1(VALU_DEP_1)
	v_div_scale_f32 v3, null, v2, v2, v1
	v_rcp_f32_e32 v4, v3
	s_waitcnt_depctr 0xfff
	v_fma_f32 v5, -v3, v4, 1.0
	s_delay_alu instid0(VALU_DEP_1) | instskip(SKIP_1) | instid1(VALU_DEP_1)
	v_fmac_f32_e32 v4, v5, v4
	v_div_scale_f32 v5, vcc_lo, v1, v2, v1
	v_mul_f32_e32 v6, v5, v4
	s_delay_alu instid0(VALU_DEP_1) | instskip(NEXT) | instid1(VALU_DEP_1)
	v_fma_f32 v7, -v3, v6, v5
	v_fmac_f32_e32 v6, v7, v4
	s_delay_alu instid0(VALU_DEP_1) | instskip(NEXT) | instid1(VALU_DEP_1)
	v_fma_f32 v3, -v3, v6, v5
	v_div_fmas_f32 v3, v3, v4, v6
	s_delay_alu instid0(VALU_DEP_1) | instskip(NEXT) | instid1(VALU_DEP_1)
	v_div_fixup_f32 v1, v3, v2, v1
	v_bfe_u32 v2, v1, 16, 1
	v_cmp_o_f32_e32 vcc_lo, v1, v1
	s_delay_alu instid0(VALU_DEP_2) | instskip(NEXT) | instid1(VALU_DEP_1)
	v_add_nc_u32_e32 v2, v1, v2
	v_add_nc_u32_e32 v2, 0x7fff, v2
	s_delay_alu instid0(VALU_DEP_1) | instskip(NEXT) | instid1(VALU_DEP_1)
	v_lshrrev_b32_e32 v2, 16, v2
	v_cndmask_b32_e32 v1, 0x7fc0, v2, vcc_lo
	global_store_b16 v0, v1, s[0:1]
	s_nop 0
	s_sendmsg sendmsg(MSG_DEALLOC_VGPRS)
	s_endpgm
	.section	.rodata,"a",@progbits
	.p2align	6, 0x0
	.amdhsa_kernel _ZN2at6native12_GLOBAL__N_138nll_loss2d_forward_size_average_kernelIN3c108BFloat16EEEvPT_PKS5_
		.amdhsa_group_segment_fixed_size 0
		.amdhsa_private_segment_fixed_size 0
		.amdhsa_kernarg_size 16
		.amdhsa_user_sgpr_count 15
		.amdhsa_user_sgpr_dispatch_ptr 0
		.amdhsa_user_sgpr_queue_ptr 0
		.amdhsa_user_sgpr_kernarg_segment_ptr 1
		.amdhsa_user_sgpr_dispatch_id 0
		.amdhsa_user_sgpr_private_segment_size 0
		.amdhsa_wavefront_size32 1
		.amdhsa_uses_dynamic_stack 0
		.amdhsa_enable_private_segment 0
		.amdhsa_system_sgpr_workgroup_id_x 1
		.amdhsa_system_sgpr_workgroup_id_y 0
		.amdhsa_system_sgpr_workgroup_id_z 0
		.amdhsa_system_sgpr_workgroup_info 0
		.amdhsa_system_vgpr_workitem_id 0
		.amdhsa_next_free_vgpr 8
		.amdhsa_next_free_sgpr 4
		.amdhsa_reserve_vcc 1
		.amdhsa_float_round_mode_32 0
		.amdhsa_float_round_mode_16_64 0
		.amdhsa_float_denorm_mode_32 3
		.amdhsa_float_denorm_mode_16_64 3
		.amdhsa_dx10_clamp 1
		.amdhsa_ieee_mode 1
		.amdhsa_fp16_overflow 0
		.amdhsa_workgroup_processor_mode 1
		.amdhsa_memory_ordered 1
		.amdhsa_forward_progress 0
		.amdhsa_shared_vgpr_count 0
		.amdhsa_exception_fp_ieee_invalid_op 0
		.amdhsa_exception_fp_denorm_src 0
		.amdhsa_exception_fp_ieee_div_zero 0
		.amdhsa_exception_fp_ieee_overflow 0
		.amdhsa_exception_fp_ieee_underflow 0
		.amdhsa_exception_fp_ieee_inexact 0
		.amdhsa_exception_int_div_zero 0
	.end_amdhsa_kernel
	.section	.text._ZN2at6native12_GLOBAL__N_138nll_loss2d_forward_size_average_kernelIN3c108BFloat16EEEvPT_PKS5_,"axG",@progbits,_ZN2at6native12_GLOBAL__N_138nll_loss2d_forward_size_average_kernelIN3c108BFloat16EEEvPT_PKS5_,comdat
.Lfunc_end14:
	.size	_ZN2at6native12_GLOBAL__N_138nll_loss2d_forward_size_average_kernelIN3c108BFloat16EEEvPT_PKS5_, .Lfunc_end14-_ZN2at6native12_GLOBAL__N_138nll_loss2d_forward_size_average_kernelIN3c108BFloat16EEEvPT_PKS5_
                                        ; -- End function
	.section	.AMDGPU.csdata,"",@progbits
; Kernel info:
; codeLenInByte = 212
; NumSgprs: 6
; NumVgprs: 8
; ScratchSize: 0
; MemoryBound: 0
; FloatMode: 240
; IeeeMode: 1
; LDSByteSize: 0 bytes/workgroup (compile time only)
; SGPRBlocks: 0
; VGPRBlocks: 0
; NumSGPRsForWavesPerEU: 6
; NumVGPRsForWavesPerEU: 8
; Occupancy: 16
; WaveLimiterHint : 0
; COMPUTE_PGM_RSRC2:SCRATCH_EN: 0
; COMPUTE_PGM_RSRC2:USER_SGPR: 15
; COMPUTE_PGM_RSRC2:TRAP_HANDLER: 0
; COMPUTE_PGM_RSRC2:TGID_X_EN: 1
; COMPUTE_PGM_RSRC2:TGID_Y_EN: 0
; COMPUTE_PGM_RSRC2:TGID_Z_EN: 0
; COMPUTE_PGM_RSRC2:TIDIG_COMP_CNT: 0
	.section	.text._ZN2at6native12_GLOBAL__N_125nll_loss2d_forward_kernelIN3c108BFloat16EflEEvPT_S6_PKS5_PKlS8_iiil,"axG",@progbits,_ZN2at6native12_GLOBAL__N_125nll_loss2d_forward_kernelIN3c108BFloat16EflEEvPT_S6_PKS5_PKlS8_iiil,comdat
	.globl	_ZN2at6native12_GLOBAL__N_125nll_loss2d_forward_kernelIN3c108BFloat16EflEEvPT_S6_PKS5_PKlS8_iiil ; -- Begin function _ZN2at6native12_GLOBAL__N_125nll_loss2d_forward_kernelIN3c108BFloat16EflEEvPT_S6_PKS5_PKlS8_iiil
	.p2align	8
	.type	_ZN2at6native12_GLOBAL__N_125nll_loss2d_forward_kernelIN3c108BFloat16EflEEvPT_S6_PKS5_PKlS8_iiil,@function
_ZN2at6native12_GLOBAL__N_125nll_loss2d_forward_kernelIN3c108BFloat16EflEEvPT_S6_PKS5_PKlS8_iiil: ; @_ZN2at6native12_GLOBAL__N_125nll_loss2d_forward_kernelIN3c108BFloat16EflEEvPT_S6_PKS5_PKlS8_iiil
; %bb.0:
	s_clause 0x1
	s_load_b128 s[16:19], s[0:1], 0x28
	s_load_b32 s12, s[0:1], 0x4c
	v_mov_b32_e32 v3, 0
	v_mov_b32_e32 v5, 0
	s_mov_b32 s20, exec_lo
	s_waitcnt lgkmcnt(0)
	v_cvt_f32_u32_e32 v1, s18
	s_sub_i32 s3, 0, s18
	s_delay_alu instid0(VALU_DEP_1) | instskip(SKIP_2) | instid1(VALU_DEP_1)
	v_rcp_iflag_f32_e32 v1, v1
	s_waitcnt_depctr 0xfff
	v_mul_f32_e32 v1, 0x4f7ffffe, v1
	v_cvt_u32_f32_e32 v1, v1
	s_delay_alu instid0(VALU_DEP_1) | instskip(NEXT) | instid1(VALU_DEP_1)
	v_readfirstlane_b32 s2, v1
	s_mul_i32 s3, s3, s2
	s_delay_alu instid0(SALU_CYCLE_1) | instskip(NEXT) | instid1(SALU_CYCLE_1)
	s_mul_hi_u32 s3, s2, s3
	s_add_i32 s2, s2, s3
	s_delay_alu instid0(SALU_CYCLE_1) | instskip(NEXT) | instid1(SALU_CYCLE_1)
	s_mul_hi_u32 s4, s15, s2
	s_mul_i32 s2, s4, s18
	s_add_i32 s6, s4, 1
	s_sub_i32 s5, s15, s2
	s_load_b64 s[2:3], s[0:1], 0x20
	s_sub_i32 s7, s5, s18
	s_cmp_ge_u32 s5, s18
	s_cselect_b32 s13, s6, s4
	s_cselect_b32 s4, s7, s5
	s_add_i32 s14, s13, 1
	s_cmp_ge_u32 s4, s18
	s_load_b256 s[4:11], s[0:1], 0x0
	s_cselect_b32 s14, s14, s13
	s_and_b32 s19, s12, 0xffff
	s_mul_i32 s13, s14, s18
	s_delay_alu instid0(SALU_CYCLE_1) | instskip(SKIP_4) | instid1(VALU_DEP_1)
	s_sub_i32 s12, s15, s13
	s_mov_b32 s13, 0
	v_mad_u64_u32 v[1:2], null, s12, s19, v[0:1]
	s_mov_b32 s15, -1
	s_mov_b32 s12, 0
	v_cmpx_gt_i32_e64 s17, v1
	s_cbranch_execnz .LBB15_7
; %bb.1:
	s_or_b32 exec_lo, exec_lo, s20
	s_and_saveexec_b32 s0, s15
	s_waitcnt lgkmcnt(0)
	s_xor_b32 s8, exec_lo, s0
	s_cbranch_execnz .LBB15_23
.LBB15_2:
	s_or_b32 exec_lo, exec_lo, s8
	s_mov_b32 s0, 0
	s_and_saveexec_b32 s1, s13
	s_cbranch_execnz .LBB15_49
.LBB15_3:
	s_or_b32 exec_lo, exec_lo, s1
	s_and_saveexec_b32 s1, s12
	s_cbranch_execnz .LBB15_51
.LBB15_4:
	s_or_b32 exec_lo, exec_lo, s1
	s_and_saveexec_b32 s1, s0
.LBB15_5:
	; divergent unreachable
.LBB15_6:
	s_endpgm
.LBB15_7:
	s_load_b64 s[12:13], s[0:1], 0x38
	s_ashr_i32 s1, s17, 31
	v_ashrrev_i32_e32 v2, 31, v1
	s_mul_hi_u32 s0, s14, s17
	s_mul_i32 s15, s14, s1
	s_mov_b32 s21, s17
	s_add_i32 s23, s0, s15
	s_mul_i32 s22, s14, s17
	s_ashr_i32 s17, s16, 31
	s_waitcnt lgkmcnt(0)
	s_cmp_lg_u64 s[2:3], 0
	v_lshlrev_b64 v[5:6], 3, v[1:2]
	s_mul_i32 s14, s19, s18
	s_cselect_b32 s18, -1, 0
	s_lshl_b64 s[24:25], s[22:23], 3
	v_mad_u64_u32 v[3:4], null, s22, s16, v[1:2]
	s_add_u32 s0, s10, s24
	s_addc_u32 s10, s11, s25
	v_add_co_u32 v5, vcc_lo, s0, v5
	v_add_co_ci_u32_e32 v6, vcc_lo, s10, v6, vcc_lo
	s_mul_i32 s0, s22, s17
	s_mul_i32 s10, s23, s16
	v_dual_mov_b32 v2, 0 :: v_dual_mov_b32 v11, 0
	v_add3_u32 v4, s0, s10, v4
	s_ashr_i32 s15, s14, 31
	s_mov_b32 s24, 0
	s_lshl_b64 s[10:11], s[14:15], 3
                                        ; implicit-def: $sgpr23
                                        ; implicit-def: $sgpr22
	s_branch .LBB15_9
.LBB15_8:                               ;   in Loop: Header=BB15_9 Depth=1
	s_or_b32 exec_lo, exec_lo, s25
	s_xor_b32 s25, s27, -1
	s_xor_b32 s26, s26, -1
	s_and_b32 s0, exec_lo, s0
	s_delay_alu instid0(SALU_CYCLE_1)
	s_or_b32 s24, s0, s24
	s_and_not1_b32 s0, s22, exec_lo
	s_and_b32 s22, s25, exec_lo
	s_and_not1_b32 s23, s23, exec_lo
	s_and_b32 s25, s26, exec_lo
	s_or_b32 s22, s0, s22
	s_or_b32 s23, s23, s25
	s_and_not1_b32 exec_lo, exec_lo, s24
	s_cbranch_execz .LBB15_20
.LBB15_9:                               ; =>This Inner Loop Header: Depth=1
	global_load_b64 v[7:8], v[5:6], off
	s_mov_b32 s28, -1
	s_mov_b32 s25, exec_lo
                                        ; implicit-def: $sgpr26
                                        ; implicit-def: $sgpr27
	s_waitcnt vmcnt(0)
	v_cmpx_ne_u64_e64 s[12:13], v[7:8]
	s_cbranch_execz .LBB15_18
; %bb.10:                               ;   in Loop: Header=BB15_9 Depth=1
	v_cmp_lt_i64_e32 vcc_lo, -1, v[7:8]
	v_cmp_gt_i64_e64 s0, s[16:17], v[7:8]
	s_mov_b32 s29, -1
	s_mov_b32 s28, 0
	s_mov_b32 s27, 0
	s_delay_alu instid0(VALU_DEP_1) | instskip(NEXT) | instid1(SALU_CYCLE_1)
	s_and_b32 s26, vcc_lo, s0
	s_and_saveexec_b32 s0, s26
	s_cbranch_execz .LBB15_17
; %bb.11:                               ;   in Loop: Header=BB15_9 Depth=1
	s_and_not1_b32 vcc_lo, exec_lo, s18
	s_cbranch_vccnz .LBB15_13
; %bb.12:                               ;   in Loop: Header=BB15_9 Depth=1
	v_lshlrev_b64 v[9:10], 1, v[7:8]
	s_delay_alu instid0(VALU_DEP_1) | instskip(NEXT) | instid1(VALU_DEP_2)
	v_add_co_u32 v9, vcc_lo, s2, v9
	v_add_co_ci_u32_e32 v10, vcc_lo, s3, v10, vcc_lo
	global_load_u16 v12, v[9:10], off
	s_branch .LBB15_14
.LBB15_13:                              ;   in Loop: Header=BB15_9 Depth=1
	v_mov_b32_e32 v12, 0x3f80
.LBB15_14:                              ;   in Loop: Header=BB15_9 Depth=1
	v_mad_u64_u32 v[9:10], null, v7, s21, v[3:4]
	v_mul_lo_u32 v7, v7, s1
	v_mul_lo_u32 v8, v8, s21
	s_mov_b32 s26, 0
	s_mov_b32 s27, exec_lo
	s_delay_alu instid0(VALU_DEP_1) | instskip(NEXT) | instid1(VALU_DEP_1)
	v_add3_u32 v10, v8, v10, v7
	v_cmpx_lt_i64_e32 -1, v[9:10]
	s_cbranch_execz .LBB15_16
; %bb.15:                               ;   in Loop: Header=BB15_9 Depth=1
	v_lshlrev_b64 v[7:8], 1, v[9:10]
	s_mov_b32 s26, exec_lo
	s_delay_alu instid0(VALU_DEP_1) | instskip(NEXT) | instid1(VALU_DEP_2)
	v_add_co_u32 v7, vcc_lo, s8, v7
	v_add_co_ci_u32_e32 v8, vcc_lo, s9, v8, vcc_lo
	global_load_u16 v7, v[7:8], off
	s_waitcnt vmcnt(1)
	v_lshlrev_b32_e32 v8, 16, v12
	s_waitcnt vmcnt(0)
	v_lshlrev_b32_e32 v7, 16, v7
	s_delay_alu instid0(VALU_DEP_1) | instskip(NEXT) | instid1(VALU_DEP_1)
	v_mul_f32_e32 v7, v8, v7
	v_bfe_u32 v9, v7, 16, 1
	v_cmp_o_f32_e32 vcc_lo, v7, v7
	s_delay_alu instid0(VALU_DEP_2) | instskip(NEXT) | instid1(VALU_DEP_1)
	v_add3_u32 v9, v7, v9, 0x7fff
	v_and_b32_e32 v9, 0xffff0000, v9
	s_delay_alu instid0(VALU_DEP_1) | instskip(NEXT) | instid1(VALU_DEP_1)
	v_cndmask_b32_e32 v7, 0x7fc00000, v9, vcc_lo
	v_dual_add_f32 v11, v11, v8 :: v_dual_sub_f32 v2, v2, v7
.LBB15_16:                              ;   in Loop: Header=BB15_9 Depth=1
	s_or_b32 exec_lo, exec_lo, s27
	s_delay_alu instid0(SALU_CYCLE_1)
	s_mov_b32 s27, exec_lo
	s_xor_b32 s29, exec_lo, -1
	s_and_b32 s28, s26, exec_lo
.LBB15_17:                              ;   in Loop: Header=BB15_9 Depth=1
	s_or_b32 exec_lo, exec_lo, s0
	s_delay_alu instid0(SALU_CYCLE_1)
	s_and_b32 s27, s27, exec_lo
	s_and_b32 s26, s29, exec_lo
	s_or_not1_b32 s28, s28, exec_lo
.LBB15_18:                              ;   in Loop: Header=BB15_9 Depth=1
	s_or_b32 exec_lo, exec_lo, s25
	s_mov_b32 s0, -1
	s_and_saveexec_b32 s25, s28
	s_cbranch_execz .LBB15_8
; %bb.19:                               ;   in Loop: Header=BB15_9 Depth=1
	v_add_nc_u32_e32 v1, s14, v1
	v_add_co_u32 v5, vcc_lo, v5, s10
	v_add_co_ci_u32_e32 v6, vcc_lo, s11, v6, vcc_lo
	s_delay_alu instid0(VALU_DEP_3) | instskip(SKIP_1) | instid1(VALU_DEP_1)
	v_cmp_le_i32_e32 vcc_lo, s21, v1
	v_add_co_u32 v3, s0, v3, s14
	v_add_co_ci_u32_e64 v4, s0, s15, v4, s0
	s_and_not1_b32 s27, s27, exec_lo
	s_and_not1_b32 s26, s26, exec_lo
	s_or_not1_b32 s0, vcc_lo, exec_lo
	s_branch .LBB15_8
.LBB15_20:
	s_or_b32 exec_lo, exec_lo, s24
	v_mov_b32_e32 v3, 0
	v_mov_b32_e32 v5, 0
	s_mov_b32 s1, 0
	s_mov_b32 s3, -1
	s_mov_b32 s0, 0
	s_and_saveexec_b32 s2, s23
	s_delay_alu instid0(SALU_CYCLE_1)
	s_xor_b32 s2, exec_lo, s2
; %bb.21:
	v_mov_b32_e32 v3, v2
	v_mov_b32_e32 v5, v11
	s_mov_b32 s0, exec_lo
	s_xor_b32 s3, exec_lo, -1
	s_and_b32 s1, s22, exec_lo
; %bb.22:
	s_or_b32 exec_lo, exec_lo, s2
	s_delay_alu instid0(SALU_CYCLE_1) | instskip(SKIP_4) | instid1(SALU_CYCLE_1)
	s_and_b32 s12, s3, exec_lo
	s_and_b32 s13, s0, exec_lo
	s_or_not1_b32 s15, s1, exec_lo
	s_or_b32 exec_lo, exec_lo, s20
	s_and_saveexec_b32 s0, s15
	s_xor_b32 s8, exec_lo, s0
	s_cbranch_execz .LBB15_2
.LBB15_23:
	v_mbcnt_lo_u32_b32 v2, -1, 0
	s_waitcnt vmcnt(0)
	s_barrier
	buffer_gl0_inv
	v_cmp_gt_u32_e32 vcc_lo, 16, v2
	v_cndmask_b32_e64 v1, 0, 1, vcc_lo
	v_cmp_gt_u32_e32 vcc_lo, 24, v2
	s_delay_alu instid0(VALU_DEP_2) | instskip(SKIP_2) | instid1(VALU_DEP_3)
	v_lshlrev_b32_e32 v1, 4, v1
	v_cndmask_b32_e64 v4, 0, 1, vcc_lo
	v_cmp_gt_u32_e32 vcc_lo, 28, v2
	v_add_lshl_u32 v1, v1, v2, 2
	ds_bpermute_b32 v6, v1, v5
	s_waitcnt lgkmcnt(0)
	v_add_f32_e32 v6, v5, v6
	v_lshlrev_b32_e32 v4, 3, v4
	v_cndmask_b32_e64 v5, 0, 1, vcc_lo
	v_cmp_gt_u32_e32 vcc_lo, 30, v2
	s_delay_alu instid0(VALU_DEP_3) | instskip(NEXT) | instid1(VALU_DEP_3)
	v_add_lshl_u32 v4, v4, v2, 2
	v_lshlrev_b32_e32 v5, 2, v5
	ds_bpermute_b32 v7, v4, v6
	v_add_lshl_u32 v5, v5, v2, 2
	s_waitcnt lgkmcnt(0)
	v_add_f32_e32 v7, v6, v7
	v_cndmask_b32_e64 v6, 0, 1, vcc_lo
	v_cmp_ne_u32_e32 vcc_lo, 31, v2
	ds_bpermute_b32 v8, v5, v7
	v_lshlrev_b32_e32 v6, 1, v6
	v_add_co_ci_u32_e32 v9, vcc_lo, 0, v2, vcc_lo
	s_waitcnt lgkmcnt(0)
	v_add_f32_e32 v7, v7, v8
	s_delay_alu instid0(VALU_DEP_3)
	v_add_lshl_u32 v6, v6, v2, 2
	ds_bpermute_b32 v8, v6, v7
	s_waitcnt lgkmcnt(0)
	v_dual_add_f32 v2, v7, v8 :: v_dual_lshlrev_b32 v7, 2, v9
	v_and_b32_e32 v9, 31, v0
	ds_bpermute_b32 v8, v7, v2
	v_cmp_eq_u32_e32 vcc_lo, 0, v9
	s_and_saveexec_b32 s0, vcc_lo
	s_cbranch_execz .LBB15_25
; %bb.24:
	s_waitcnt lgkmcnt(0)
	v_add_f32_e32 v2, v2, v8
	v_lshrrev_b32_e32 v8, 3, v0
	ds_store_b32 v8, v2 offset:4096
.LBB15_25:
	s_or_b32 exec_lo, exec_lo, s0
	s_lshr_b32 s0, s19, 5
	s_waitcnt lgkmcnt(0)
	v_mov_b32_e32 v8, 0
	v_cmp_gt_u32_e64 s0, s0, v0
	s_barrier
	buffer_gl0_inv
	s_and_saveexec_b32 s1, s0
	s_cbranch_execz .LBB15_27
; %bb.26:
	v_lshlrev_b32_e32 v2, 2, v9
	ds_load_b32 v8, v2 offset:4096
.LBB15_27:
	s_or_b32 exec_lo, exec_lo, s1
	v_cmp_gt_u32_e64 s1, 32, v0
	s_delay_alu instid0(VALU_DEP_1)
	s_and_saveexec_b32 s2, s1
	s_cbranch_execz .LBB15_29
; %bb.28:
	s_waitcnt lgkmcnt(0)
	ds_bpermute_b32 v2, v1, v8
	s_waitcnt lgkmcnt(0)
	v_add_f32_e32 v2, v8, v2
	ds_bpermute_b32 v8, v4, v2
	s_waitcnt lgkmcnt(0)
	v_add_f32_e32 v2, v2, v8
	;; [unrolled: 3-line block ×5, first 2 shown]
.LBB15_29:
	s_or_b32 exec_lo, exec_lo, s2
	ds_bpermute_b32 v2, v1, v3
	s_waitcnt lgkmcnt(0)
	s_barrier
	buffer_gl0_inv
	v_add_f32_e32 v2, v3, v2
	ds_bpermute_b32 v3, v4, v2
	s_waitcnt lgkmcnt(0)
	v_add_f32_e32 v2, v2, v3
	ds_bpermute_b32 v3, v5, v2
	s_waitcnt lgkmcnt(0)
	;; [unrolled: 3-line block ×3, first 2 shown]
	v_add_f32_e32 v2, v2, v3
	ds_bpermute_b32 v3, v7, v2
	s_and_saveexec_b32 s2, vcc_lo
	s_cbranch_execz .LBB15_31
; %bb.30:
	s_waitcnt lgkmcnt(0)
	v_add_f32_e32 v2, v2, v3
	v_lshrrev_b32_e32 v3, 3, v0
	ds_store_b32 v3, v2
.LBB15_31:
	s_or_b32 exec_lo, exec_lo, s2
	v_mov_b32_e32 v2, 0
	s_waitcnt lgkmcnt(0)
	s_barrier
	buffer_gl0_inv
	s_and_saveexec_b32 s2, s0
	s_cbranch_execz .LBB15_33
; %bb.32:
	v_lshlrev_b32_e32 v2, 2, v9
	ds_load_b32 v2, v2
.LBB15_33:
	s_or_b32 exec_lo, exec_lo, s2
	s_and_saveexec_b32 s0, s1
	s_cbranch_execz .LBB15_35
; %bb.34:
	s_waitcnt lgkmcnt(0)
	ds_bpermute_b32 v1, v1, v2
	s_waitcnt lgkmcnt(0)
	v_add_f32_e32 v1, v2, v1
	ds_bpermute_b32 v2, v4, v1
	s_waitcnt lgkmcnt(0)
	v_add_f32_e32 v1, v1, v2
	;; [unrolled: 3-line block ×5, first 2 shown]
.LBB15_35:
	s_or_b32 exec_lo, exec_lo, s0
	s_mov_b32 s3, 0
	s_mov_b32 s1, exec_lo
	v_cmpx_eq_u32_e32 0, v0
	s_cbranch_execz .LBB15_48
; %bb.36:
	s_and_b32 s2, s6, 2
	s_and_b32 s6, s6, -3
	v_bfe_u32 v0, v8, 16, 1
	s_load_b32 s9, s[6:7], 0x0
	v_cmp_o_f32_e32 vcc_lo, v8, v8
	s_cmp_eq_u64 s[2:3], 0
	v_mov_b32_e32 v4, 0
	v_add3_u32 v0, v8, v0, 0x7fff
	s_cselect_b32 s0, -1, 0
	s_cmp_lg_u32 s2, 0
	s_cselect_b32 s2, -1, 0
	s_waitcnt lgkmcnt(0)
	v_dual_mov_b32 v1, s9 :: v_dual_and_b32 v0, 0xffff0000, v0
	s_delay_alu instid0(VALU_DEP_1)
	v_cndmask_b32_e32 v3, 0x7fc00000, v0, vcc_lo
	s_set_inst_prefetch_distance 0x1
	s_branch .LBB15_38
	.p2align	6
.LBB15_37:                              ;   in Loop: Header=BB15_38 Depth=1
	global_atomic_cmpswap_b32 v0, v4, v[0:1], s[6:7] glc
	s_waitcnt vmcnt(0)
	v_cmp_eq_u32_e32 vcc_lo, v1, v0
	v_mov_b32_e32 v1, v0
	s_or_b32 s3, vcc_lo, s3
	s_delay_alu instid0(SALU_CYCLE_1)
	s_and_not1_b32 exec_lo, exec_lo, s3
	s_cbranch_execz .LBB15_42
.LBB15_38:                              ; =>This Inner Loop Header: Depth=1
	s_delay_alu instid0(VALU_DEP_1) | instskip(NEXT) | instid1(VALU_DEP_1)
	v_lshrrev_b32_e32 v0, 16, v1
	v_cndmask_b32_e64 v0, v0, v1, s0
	s_delay_alu instid0(VALU_DEP_1) | instskip(NEXT) | instid1(VALU_DEP_1)
	v_lshlrev_b32_e32 v0, 16, v0
	v_add_f32_e32 v0, v3, v0
	s_delay_alu instid0(VALU_DEP_1) | instskip(SKIP_1) | instid1(VALU_DEP_2)
	v_bfe_u32 v5, v0, 16, 1
	v_cmp_o_f32_e32 vcc_lo, v0, v0
	v_add3_u32 v5, v0, v5, 0x7fff
	s_delay_alu instid0(VALU_DEP_1) | instskip(NEXT) | instid1(VALU_DEP_1)
	v_lshrrev_b32_e32 v5, 16, v5
	v_cndmask_b32_e32 v5, 0x7fc0, v5, vcc_lo
	s_and_not1_b32 vcc_lo, exec_lo, s2
	s_cbranch_vccnz .LBB15_40
; %bb.39:                               ;   in Loop: Header=BB15_38 Depth=1
	v_and_b32_e32 v0, 0xffff, v1
	s_delay_alu instid0(VALU_DEP_1)
	v_lshl_or_b32 v0, v5, 16, v0
	s_cbranch_execnz .LBB15_37
	s_branch .LBB15_41
	.p2align	6
.LBB15_40:                              ;   in Loop: Header=BB15_38 Depth=1
.LBB15_41:                              ;   in Loop: Header=BB15_38 Depth=1
	s_delay_alu instid0(VALU_DEP_1)
	v_and_or_b32 v0, 0xffff0000, v1, v5
	s_branch .LBB15_37
.LBB15_42:
	s_set_inst_prefetch_distance 0x2
	s_or_b32 exec_lo, exec_lo, s3
	v_bfe_u32 v0, v2, 16, 1
	s_and_b32 s2, s4, 2
	s_and_b32 s4, s4, -3
	v_cmp_o_f32_e32 vcc_lo, v2, v2
	s_mov_b32 s3, 0
	v_add3_u32 v0, v2, v0, 0x7fff
	v_mov_b32_e32 v3, 0
	s_cmp_eq_u64 s[2:3], 0
	s_cselect_b32 s0, -1, 0
	s_delay_alu instid0(VALU_DEP_2)
	v_and_b32_e32 v0, 0xffff0000, v0
	global_load_b32 v1, v3, s[4:5]
	s_cmp_lg_u32 s2, 0
	s_cselect_b32 s2, -1, 0
	v_cndmask_b32_e32 v2, 0x7fc00000, v0, vcc_lo
	s_set_inst_prefetch_distance 0x1
	s_branch .LBB15_44
	.p2align	6
.LBB15_43:                              ;   in Loop: Header=BB15_44 Depth=1
	global_atomic_cmpswap_b32 v0, v3, v[0:1], s[4:5] glc
	s_waitcnt vmcnt(0)
	v_cmp_eq_u32_e32 vcc_lo, v1, v0
	v_mov_b32_e32 v1, v0
	s_or_b32 s3, vcc_lo, s3
	s_delay_alu instid0(SALU_CYCLE_1)
	s_and_not1_b32 exec_lo, exec_lo, s3
	s_cbranch_execz .LBB15_48
.LBB15_44:                              ; =>This Inner Loop Header: Depth=1
	s_waitcnt vmcnt(0)
	v_lshrrev_b32_e32 v0, 16, v1
	s_delay_alu instid0(VALU_DEP_1) | instskip(NEXT) | instid1(VALU_DEP_1)
	v_cndmask_b32_e64 v0, v0, v1, s0
	v_lshlrev_b32_e32 v0, 16, v0
	s_delay_alu instid0(VALU_DEP_1) | instskip(NEXT) | instid1(VALU_DEP_1)
	v_add_f32_e32 v0, v2, v0
	v_bfe_u32 v4, v0, 16, 1
	v_cmp_o_f32_e32 vcc_lo, v0, v0
	s_delay_alu instid0(VALU_DEP_2) | instskip(NEXT) | instid1(VALU_DEP_1)
	v_add3_u32 v4, v0, v4, 0x7fff
	v_lshrrev_b32_e32 v4, 16, v4
	s_delay_alu instid0(VALU_DEP_1)
	v_cndmask_b32_e32 v4, 0x7fc0, v4, vcc_lo
	s_and_not1_b32 vcc_lo, exec_lo, s2
	s_cbranch_vccnz .LBB15_46
; %bb.45:                               ;   in Loop: Header=BB15_44 Depth=1
	v_and_b32_e32 v0, 0xffff, v1
	s_delay_alu instid0(VALU_DEP_1)
	v_lshl_or_b32 v0, v4, 16, v0
	s_cbranch_execnz .LBB15_43
	s_branch .LBB15_47
	.p2align	6
.LBB15_46:                              ;   in Loop: Header=BB15_44 Depth=1
.LBB15_47:                              ;   in Loop: Header=BB15_44 Depth=1
	s_delay_alu instid0(VALU_DEP_1)
	v_and_or_b32 v0, 0xffff0000, v1, v4
	s_branch .LBB15_43
.LBB15_48:
	s_set_inst_prefetch_distance 0x2
	s_or_b32 exec_lo, exec_lo, s1
	s_delay_alu instid0(SALU_CYCLE_1)
	s_and_not1_b32 s13, s13, exec_lo
	s_or_b32 exec_lo, exec_lo, s8
	s_mov_b32 s0, 0
	s_and_saveexec_b32 s1, s13
	s_cbranch_execz .LBB15_3
.LBB15_49:
	s_cbranch_execnz .LBB15_53
; %bb.50:
	s_mov_b32 s0, exec_lo
	s_or_b32 exec_lo, exec_lo, s1
	s_and_saveexec_b32 s1, s12
	s_cbranch_execz .LBB15_4
.LBB15_51:
	s_cbranch_execnz .LBB15_55
; %bb.52:
	s_or_b32 s0, s0, exec_lo
	s_or_b32 exec_lo, exec_lo, s1
	s_and_saveexec_b32 s1, s0
	s_cbranch_execnz .LBB15_5
	s_branch .LBB15_6
.LBB15_53:
	s_trap 2
	s_sendmsg_rtn_b32 s0, sendmsg(MSG_RTN_GET_DOORBELL)
	s_mov_b32 ttmp2, m0
	s_waitcnt lgkmcnt(0)
	s_and_b32 s0, s0, 0x3ff
	s_delay_alu instid0(SALU_CYCLE_1) | instskip(NEXT) | instid1(SALU_CYCLE_1)
	s_bitset1_b32 s0, 10
	s_mov_b32 m0, s0
	s_sendmsg sendmsg(MSG_INTERRUPT)
	s_mov_b32 m0, ttmp2
.LBB15_54:                              ; =>This Inner Loop Header: Depth=1
	s_sethalt 5
	s_branch .LBB15_54
.LBB15_55:
	s_trap 2
	s_sendmsg_rtn_b32 s0, sendmsg(MSG_RTN_GET_DOORBELL)
	s_mov_b32 ttmp2, m0
	s_waitcnt lgkmcnt(0)
	s_and_b32 s0, s0, 0x3ff
	s_delay_alu instid0(SALU_CYCLE_1) | instskip(NEXT) | instid1(SALU_CYCLE_1)
	s_bitset1_b32 s0, 10
	s_mov_b32 m0, s0
	s_sendmsg sendmsg(MSG_INTERRUPT)
	s_mov_b32 m0, ttmp2
.LBB15_56:                              ; =>This Inner Loop Header: Depth=1
	s_sethalt 5
	s_branch .LBB15_56
	.section	.rodata,"a",@progbits
	.p2align	6, 0x0
	.amdhsa_kernel _ZN2at6native12_GLOBAL__N_125nll_loss2d_forward_kernelIN3c108BFloat16EflEEvPT_S6_PKS5_PKlS8_iiil
		.amdhsa_group_segment_fixed_size 8192
		.amdhsa_private_segment_fixed_size 0
		.amdhsa_kernarg_size 320
		.amdhsa_user_sgpr_count 15
		.amdhsa_user_sgpr_dispatch_ptr 0
		.amdhsa_user_sgpr_queue_ptr 0
		.amdhsa_user_sgpr_kernarg_segment_ptr 1
		.amdhsa_user_sgpr_dispatch_id 0
		.amdhsa_user_sgpr_private_segment_size 0
		.amdhsa_wavefront_size32 1
		.amdhsa_uses_dynamic_stack 0
		.amdhsa_enable_private_segment 0
		.amdhsa_system_sgpr_workgroup_id_x 1
		.amdhsa_system_sgpr_workgroup_id_y 0
		.amdhsa_system_sgpr_workgroup_id_z 0
		.amdhsa_system_sgpr_workgroup_info 0
		.amdhsa_system_vgpr_workitem_id 0
		.amdhsa_next_free_vgpr 13
		.amdhsa_next_free_sgpr 30
		.amdhsa_reserve_vcc 1
		.amdhsa_float_round_mode_32 0
		.amdhsa_float_round_mode_16_64 0
		.amdhsa_float_denorm_mode_32 3
		.amdhsa_float_denorm_mode_16_64 3
		.amdhsa_dx10_clamp 1
		.amdhsa_ieee_mode 1
		.amdhsa_fp16_overflow 0
		.amdhsa_workgroup_processor_mode 1
		.amdhsa_memory_ordered 1
		.amdhsa_forward_progress 0
		.amdhsa_shared_vgpr_count 0
		.amdhsa_exception_fp_ieee_invalid_op 0
		.amdhsa_exception_fp_denorm_src 0
		.amdhsa_exception_fp_ieee_div_zero 0
		.amdhsa_exception_fp_ieee_overflow 0
		.amdhsa_exception_fp_ieee_underflow 0
		.amdhsa_exception_fp_ieee_inexact 0
		.amdhsa_exception_int_div_zero 0
	.end_amdhsa_kernel
	.section	.text._ZN2at6native12_GLOBAL__N_125nll_loss2d_forward_kernelIN3c108BFloat16EflEEvPT_S6_PKS5_PKlS8_iiil,"axG",@progbits,_ZN2at6native12_GLOBAL__N_125nll_loss2d_forward_kernelIN3c108BFloat16EflEEvPT_S6_PKS5_PKlS8_iiil,comdat
.Lfunc_end15:
	.size	_ZN2at6native12_GLOBAL__N_125nll_loss2d_forward_kernelIN3c108BFloat16EflEEvPT_S6_PKS5_PKlS8_iiil, .Lfunc_end15-_ZN2at6native12_GLOBAL__N_125nll_loss2d_forward_kernelIN3c108BFloat16EflEEvPT_S6_PKS5_PKlS8_iiil
                                        ; -- End function
	.section	.AMDGPU.csdata,"",@progbits
; Kernel info:
; codeLenInByte = 2356
; NumSgprs: 32
; NumVgprs: 13
; ScratchSize: 0
; MemoryBound: 0
; FloatMode: 240
; IeeeMode: 1
; LDSByteSize: 8192 bytes/workgroup (compile time only)
; SGPRBlocks: 3
; VGPRBlocks: 1
; NumSGPRsForWavesPerEU: 32
; NumVGPRsForWavesPerEU: 13
; Occupancy: 16
; WaveLimiterHint : 1
; COMPUTE_PGM_RSRC2:SCRATCH_EN: 0
; COMPUTE_PGM_RSRC2:USER_SGPR: 15
; COMPUTE_PGM_RSRC2:TRAP_HANDLER: 0
; COMPUTE_PGM_RSRC2:TGID_X_EN: 1
; COMPUTE_PGM_RSRC2:TGID_Y_EN: 0
; COMPUTE_PGM_RSRC2:TGID_Z_EN: 0
; COMPUTE_PGM_RSRC2:TIDIG_COMP_CNT: 0
	.section	.text._ZN2at6native12_GLOBAL__N_136nll_loss2d_backward_no_reduce_kernelIdEEvlN5torch10headeronly6detail27GenericPackedTensorAccessorINS5_14TensorAccessorIN3c108ArrayRefIlEElLm2ENS4_16DefaultPtrTraitsElEENS_6detail16IndexBoundsCheckILm3ElEElLm3ESB_lEENS6_INS7_ISA_T_Lm2ESB_lEESF_SH_Lm3ESB_lEENS6_INS7_ISA_SH_Lm3ESB_lEENSE_ILm4ElEESH_Lm4ESB_lEEPKSH_l,"axG",@progbits,_ZN2at6native12_GLOBAL__N_136nll_loss2d_backward_no_reduce_kernelIdEEvlN5torch10headeronly6detail27GenericPackedTensorAccessorINS5_14TensorAccessorIN3c108ArrayRefIlEElLm2ENS4_16DefaultPtrTraitsElEENS_6detail16IndexBoundsCheckILm3ElEElLm3ESB_lEENS6_INS7_ISA_T_Lm2ESB_lEESF_SH_Lm3ESB_lEENS6_INS7_ISA_SH_Lm3ESB_lEENSE_ILm4ElEESH_Lm4ESB_lEEPKSH_l,comdat
	.globl	_ZN2at6native12_GLOBAL__N_136nll_loss2d_backward_no_reduce_kernelIdEEvlN5torch10headeronly6detail27GenericPackedTensorAccessorINS5_14TensorAccessorIN3c108ArrayRefIlEElLm2ENS4_16DefaultPtrTraitsElEENS_6detail16IndexBoundsCheckILm3ElEElLm3ESB_lEENS6_INS7_ISA_T_Lm2ESB_lEESF_SH_Lm3ESB_lEENS6_INS7_ISA_SH_Lm3ESB_lEENSE_ILm4ElEESH_Lm4ESB_lEEPKSH_l ; -- Begin function _ZN2at6native12_GLOBAL__N_136nll_loss2d_backward_no_reduce_kernelIdEEvlN5torch10headeronly6detail27GenericPackedTensorAccessorINS5_14TensorAccessorIN3c108ArrayRefIlEElLm2ENS4_16DefaultPtrTraitsElEENS_6detail16IndexBoundsCheckILm3ElEElLm3ESB_lEENS6_INS7_ISA_T_Lm2ESB_lEESF_SH_Lm3ESB_lEENS6_INS7_ISA_SH_Lm3ESB_lEENSE_ILm4ElEESH_Lm4ESB_lEEPKSH_l
	.p2align	8
	.type	_ZN2at6native12_GLOBAL__N_136nll_loss2d_backward_no_reduce_kernelIdEEvlN5torch10headeronly6detail27GenericPackedTensorAccessorINS5_14TensorAccessorIN3c108ArrayRefIlEElLm2ENS4_16DefaultPtrTraitsElEENS_6detail16IndexBoundsCheckILm3ElEElLm3ESB_lEENS6_INS7_ISA_T_Lm2ESB_lEESF_SH_Lm3ESB_lEENS6_INS7_ISA_SH_Lm3ESB_lEENSE_ILm4ElEESH_Lm4ESB_lEEPKSH_l,@function
_ZN2at6native12_GLOBAL__N_136nll_loss2d_backward_no_reduce_kernelIdEEvlN5torch10headeronly6detail27GenericPackedTensorAccessorINS5_14TensorAccessorIN3c108ArrayRefIlEElLm2ENS4_16DefaultPtrTraitsElEENS_6detail16IndexBoundsCheckILm3ElEElLm3ESB_lEENS6_INS7_ISA_T_Lm2ESB_lEESF_SH_Lm3ESB_lEENS6_INS7_ISA_SH_Lm3ESB_lEENSE_ILm4ElEESH_Lm4ESB_lEEPKSH_l: ; @_ZN2at6native12_GLOBAL__N_136nll_loss2d_backward_no_reduce_kernelIdEEvlN5torch10headeronly6detail27GenericPackedTensorAccessorINS5_14TensorAccessorIN3c108ArrayRefIlEElLm2ENS4_16DefaultPtrTraitsElEENS_6detail16IndexBoundsCheckILm3ElEElLm3ESB_lEENS6_INS7_ISA_T_Lm2ESB_lEESF_SH_Lm3ESB_lEENS6_INS7_ISA_SH_Lm3ESB_lEENSE_ILm4ElEESH_Lm4ESB_lEEPKSH_l
; %bb.0:
	s_clause 0x1
	s_load_b32 s4, s[0:1], 0xdc
	s_load_b64 s[2:3], s[0:1], 0x0
	v_mov_b32_e32 v2, 0
	s_add_u32 s12, s0, 0xd0
	s_addc_u32 s13, s1, 0
	s_delay_alu instid0(VALU_DEP_1) | instskip(SKIP_3) | instid1(VALU_DEP_1)
	v_mov_b32_e32 v1, v2
	s_waitcnt lgkmcnt(0)
	s_and_b32 s44, s4, 0xffff
	s_mov_b32 s4, exec_lo
	v_mad_u64_u32 v[4:5], null, s44, s15, v[0:1]
	s_delay_alu instid0(VALU_DEP_1)
	v_cmpx_gt_i64_e64 s[2:3], v[4:5]
	s_cbranch_execz .LBB16_29
; %bb.1:
	s_clause 0x4
	s_load_b128 s[28:31], s[0:1], 0x10
	s_load_b128 s[36:39], s[0:1], 0xc0
	s_load_b64 s[34:35], s[0:1], 0x8
	s_load_b64 s[40:41], s[0:1], 0x20
	s_load_b256 s[4:11], s[0:1], 0x28
	s_load_b32 s45, s[12:13], 0x0
	s_clause 0x2
	s_load_b64 s[42:43], s[0:1], 0x88
	s_load_b256 s[12:19], s[0:1], 0x60
	s_load_b256 s[20:27], s[0:1], 0xa0
	s_mov_b32 s49, 0
                                        ; implicit-def: $sgpr51
                                        ; implicit-def: $sgpr53
	s_waitcnt lgkmcnt(0)
	v_cvt_f32_u32_e32 v0, s28
	s_mul_i32 s0, s30, s29
	s_mul_hi_u32 s1, s30, s28
	s_mul_i32 s33, s31, s28
	s_add_i32 s0, s1, s0
	v_rcp_iflag_f32_e32 v0, v0
	v_mov_b32_e32 v3, v4
	s_add_i32 s1, s0, s33
	s_cmp_lg_u64 s[36:37], 0
	s_mul_i32 s50, s45, s44
	s_mul_i32 s33, s30, s28
	s_cselect_b32 s48, -1, 0
	s_mov_b32 s52, s50
	s_waitcnt_depctr 0xfff
	v_mul_f32_e32 v0, 0x4f7ffffe, v0
	s_delay_alu instid0(VALU_DEP_1)
	v_cvt_u32_f32_e32 v14, v0
	v_dual_mov_b32 v0, v2 :: v_dual_mov_b32 v1, v3
	s_branch .LBB16_3
.LBB16_2:                               ;   in Loop: Header=BB16_3 Depth=1
	s_or_b32 exec_lo, exec_lo, s45
	s_delay_alu instid0(SALU_CYCLE_1) | instskip(NEXT) | instid1(SALU_CYCLE_1)
	s_and_b32 s0, exec_lo, s44
	s_or_b32 s49, s0, s49
	s_and_not1_b32 s0, s51, exec_lo
	s_and_b32 s44, s53, exec_lo
	s_delay_alu instid0(SALU_CYCLE_1)
	s_or_b32 s51, s0, s44
	s_and_not1_b32 exec_lo, exec_lo, s49
	s_cbranch_execz .LBB16_28
.LBB16_3:                               ; =>This Inner Loop Header: Depth=1
	s_delay_alu instid0(VALU_DEP_1) | instskip(SKIP_2) | instid1(VALU_DEP_2)
	v_ashrrev_i32_e32 v15, 31, v1
	v_mov_b32_e32 v16, v1
                                        ; implicit-def: $vgpr6_vgpr7
	s_mov_b32 s0, exec_lo
	v_or_b32_e32 v3, s29, v15
	s_delay_alu instid0(VALU_DEP_1)
	v_cmpx_ne_u64_e32 0, v[2:3]
	s_xor_b32 s54, exec_lo, s0
	s_cbranch_execz .LBB16_5
; %bb.4:                                ;   in Loop: Header=BB16_3 Depth=1
	s_ashr_i32 s44, s29, 31
	s_delay_alu instid0(SALU_CYCLE_1) | instskip(SKIP_2) | instid1(SALU_CYCLE_1)
	s_add_u32 s46, s28, s44
	s_mov_b32 s45, s44
	s_addc_u32 s47, s29, s44
	s_xor_b64 s[46:47], s[46:47], s[44:45]
	s_delay_alu instid0(SALU_CYCLE_1) | instskip(SKIP_3) | instid1(VALU_DEP_1)
	v_cvt_f32_u32_e32 v3, s46
	v_cvt_f32_u32_e32 v6, s47
	s_sub_u32 s0, 0, s46
	s_subb_u32 s45, 0, s47
	v_fmac_f32_e32 v3, 0x4f800000, v6
	s_delay_alu instid0(VALU_DEP_1) | instskip(SKIP_2) | instid1(VALU_DEP_1)
	v_rcp_f32_e32 v3, v3
	s_waitcnt_depctr 0xfff
	v_mul_f32_e32 v3, 0x5f7ffffc, v3
	v_mul_f32_e32 v6, 0x2f800000, v3
	s_delay_alu instid0(VALU_DEP_1) | instskip(NEXT) | instid1(VALU_DEP_1)
	v_trunc_f32_e32 v6, v6
	v_fmac_f32_e32 v3, 0xcf800000, v6
	v_cvt_u32_f32_e32 v6, v6
	s_delay_alu instid0(VALU_DEP_2) | instskip(NEXT) | instid1(VALU_DEP_2)
	v_cvt_u32_f32_e32 v3, v3
	v_mul_lo_u32 v7, s0, v6
	s_delay_alu instid0(VALU_DEP_2) | instskip(SKIP_1) | instid1(VALU_DEP_2)
	v_mul_hi_u32 v8, s0, v3
	v_mul_lo_u32 v9, s45, v3
	v_add_nc_u32_e32 v7, v8, v7
	v_mul_lo_u32 v8, s0, v3
	s_delay_alu instid0(VALU_DEP_2) | instskip(NEXT) | instid1(VALU_DEP_2)
	v_add_nc_u32_e32 v7, v7, v9
	v_mul_hi_u32 v9, v3, v8
	s_delay_alu instid0(VALU_DEP_2)
	v_mul_lo_u32 v10, v3, v7
	v_mul_hi_u32 v11, v3, v7
	v_mul_hi_u32 v12, v6, v8
	v_mul_lo_u32 v8, v6, v8
	v_mul_hi_u32 v13, v6, v7
	v_mul_lo_u32 v7, v6, v7
	v_add_co_u32 v9, vcc_lo, v9, v10
	v_add_co_ci_u32_e32 v10, vcc_lo, 0, v11, vcc_lo
	s_delay_alu instid0(VALU_DEP_2) | instskip(NEXT) | instid1(VALU_DEP_2)
	v_add_co_u32 v8, vcc_lo, v9, v8
	v_add_co_ci_u32_e32 v8, vcc_lo, v10, v12, vcc_lo
	v_add_co_ci_u32_e32 v9, vcc_lo, 0, v13, vcc_lo
	v_ashrrev_i32_e32 v12, 31, v15
	s_delay_alu instid0(VALU_DEP_3) | instskip(NEXT) | instid1(VALU_DEP_3)
	v_add_co_u32 v7, vcc_lo, v8, v7
	v_add_co_ci_u32_e32 v8, vcc_lo, 0, v9, vcc_lo
	s_delay_alu instid0(VALU_DEP_2) | instskip(NEXT) | instid1(VALU_DEP_2)
	v_add_co_u32 v3, vcc_lo, v3, v7
	v_add_co_ci_u32_e32 v6, vcc_lo, v6, v8, vcc_lo
	s_delay_alu instid0(VALU_DEP_2) | instskip(SKIP_1) | instid1(VALU_DEP_3)
	v_mul_hi_u32 v7, s0, v3
	v_mul_lo_u32 v9, s45, v3
	v_mul_lo_u32 v8, s0, v6
	s_delay_alu instid0(VALU_DEP_1) | instskip(SKIP_1) | instid1(VALU_DEP_2)
	v_add_nc_u32_e32 v7, v7, v8
	v_mul_lo_u32 v8, s0, v3
	v_add_nc_u32_e32 v7, v7, v9
	s_delay_alu instid0(VALU_DEP_2) | instskip(NEXT) | instid1(VALU_DEP_2)
	v_mul_hi_u32 v9, v3, v8
	v_mul_lo_u32 v10, v3, v7
	v_mul_hi_u32 v11, v3, v7
	v_mul_hi_u32 v13, v6, v8
	v_mul_lo_u32 v8, v6, v8
	v_mul_hi_u32 v17, v6, v7
	v_mul_lo_u32 v7, v6, v7
	v_add_co_u32 v9, vcc_lo, v9, v10
	v_add_co_ci_u32_e32 v10, vcc_lo, 0, v11, vcc_lo
	s_delay_alu instid0(VALU_DEP_2) | instskip(NEXT) | instid1(VALU_DEP_2)
	v_add_co_u32 v8, vcc_lo, v9, v8
	v_add_co_ci_u32_e32 v8, vcc_lo, v10, v13, vcc_lo
	v_add_co_ci_u32_e32 v9, vcc_lo, 0, v17, vcc_lo
	v_add_co_u32 v10, vcc_lo, v16, v12
	v_add_co_ci_u32_e32 v11, vcc_lo, v15, v12, vcc_lo
	s_delay_alu instid0(VALU_DEP_4) | instskip(NEXT) | instid1(VALU_DEP_4)
	v_add_co_u32 v7, vcc_lo, v8, v7
	v_add_co_ci_u32_e32 v8, vcc_lo, 0, v9, vcc_lo
	s_delay_alu instid0(VALU_DEP_4) | instskip(NEXT) | instid1(VALU_DEP_3)
	v_xor_b32_e32 v13, v10, v12
	v_add_co_u32 v3, vcc_lo, v3, v7
	s_delay_alu instid0(VALU_DEP_3) | instskip(SKIP_1) | instid1(VALU_DEP_3)
	v_add_co_ci_u32_e32 v17, vcc_lo, v6, v8, vcc_lo
	v_xor_b32_e32 v18, v11, v12
	v_mul_hi_u32 v19, v13, v3
	s_delay_alu instid0(VALU_DEP_3) | instskip(NEXT) | instid1(VALU_DEP_3)
	v_mad_u64_u32 v[6:7], null, v13, v17, 0
	v_mad_u64_u32 v[8:9], null, v18, v3, 0
	;; [unrolled: 1-line block ×3, first 2 shown]
	s_delay_alu instid0(VALU_DEP_3) | instskip(NEXT) | instid1(VALU_DEP_4)
	v_add_co_u32 v3, vcc_lo, v19, v6
	v_add_co_ci_u32_e32 v6, vcc_lo, 0, v7, vcc_lo
	s_delay_alu instid0(VALU_DEP_2) | instskip(NEXT) | instid1(VALU_DEP_2)
	v_add_co_u32 v3, vcc_lo, v3, v8
	v_add_co_ci_u32_e32 v3, vcc_lo, v6, v9, vcc_lo
	v_add_co_ci_u32_e32 v6, vcc_lo, 0, v11, vcc_lo
	s_delay_alu instid0(VALU_DEP_2) | instskip(NEXT) | instid1(VALU_DEP_2)
	v_add_co_u32 v3, vcc_lo, v3, v10
	v_add_co_ci_u32_e32 v8, vcc_lo, 0, v6, vcc_lo
	s_delay_alu instid0(VALU_DEP_2) | instskip(SKIP_1) | instid1(VALU_DEP_3)
	v_mul_lo_u32 v9, s47, v3
	v_mad_u64_u32 v[6:7], null, s46, v3, 0
	v_mul_lo_u32 v10, s46, v8
	s_delay_alu instid0(VALU_DEP_2) | instskip(NEXT) | instid1(VALU_DEP_2)
	v_sub_co_u32 v6, vcc_lo, v13, v6
	v_add3_u32 v7, v7, v10, v9
	s_delay_alu instid0(VALU_DEP_1) | instskip(NEXT) | instid1(VALU_DEP_1)
	v_sub_nc_u32_e32 v9, v18, v7
	v_subrev_co_ci_u32_e64 v9, s0, s47, v9, vcc_lo
	v_add_co_u32 v10, s0, v3, 2
	s_delay_alu instid0(VALU_DEP_1) | instskip(SKIP_3) | instid1(VALU_DEP_3)
	v_add_co_ci_u32_e64 v11, s0, 0, v8, s0
	v_sub_co_u32 v13, s0, v6, s46
	v_sub_co_ci_u32_e32 v7, vcc_lo, v18, v7, vcc_lo
	v_subrev_co_ci_u32_e64 v9, s0, 0, v9, s0
	v_cmp_le_u32_e32 vcc_lo, s46, v13
	s_delay_alu instid0(VALU_DEP_3) | instskip(SKIP_1) | instid1(VALU_DEP_4)
	v_cmp_eq_u32_e64 s0, s47, v7
	v_cndmask_b32_e64 v13, 0, -1, vcc_lo
	v_cmp_le_u32_e32 vcc_lo, s47, v9
	v_cndmask_b32_e64 v17, 0, -1, vcc_lo
	v_cmp_le_u32_e32 vcc_lo, s46, v6
	;; [unrolled: 2-line block ×3, first 2 shown]
	v_cndmask_b32_e64 v18, 0, -1, vcc_lo
	v_cmp_eq_u32_e32 vcc_lo, s47, v9
	s_delay_alu instid0(VALU_DEP_2) | instskip(SKIP_3) | instid1(VALU_DEP_3)
	v_cndmask_b32_e64 v6, v18, v6, s0
	v_cndmask_b32_e32 v9, v17, v13, vcc_lo
	v_add_co_u32 v13, vcc_lo, v3, 1
	v_add_co_ci_u32_e32 v17, vcc_lo, 0, v8, vcc_lo
	v_cmp_ne_u32_e32 vcc_lo, 0, v9
	s_delay_alu instid0(VALU_DEP_2) | instskip(NEXT) | instid1(VALU_DEP_4)
	v_cndmask_b32_e32 v7, v17, v11, vcc_lo
	v_cndmask_b32_e32 v9, v13, v10, vcc_lo
	v_cmp_ne_u32_e32 vcc_lo, 0, v6
	v_xor_b32_e32 v10, s44, v12
	s_delay_alu instid0(VALU_DEP_3) | instskip(NEXT) | instid1(VALU_DEP_1)
	v_dual_cndmask_b32 v3, v3, v9 :: v_dual_cndmask_b32 v6, v8, v7
	v_xor_b32_e32 v3, v3, v10
	s_delay_alu instid0(VALU_DEP_2) | instskip(NEXT) | instid1(VALU_DEP_2)
	v_xor_b32_e32 v7, v6, v10
	v_sub_co_u32 v6, vcc_lo, v3, v10
	s_delay_alu instid0(VALU_DEP_2)
	v_sub_co_ci_u32_e32 v7, vcc_lo, v7, v10, vcc_lo
.LBB16_5:                               ;   in Loop: Header=BB16_3 Depth=1
	s_and_not1_saveexec_b32 s0, s54
	s_cbranch_execz .LBB16_7
; %bb.6:                                ;   in Loop: Header=BB16_3 Depth=1
	s_sub_i32 s44, 0, s28
	s_delay_alu instid0(SALU_CYCLE_1) | instskip(NEXT) | instid1(VALU_DEP_1)
	v_mul_lo_u32 v3, s44, v14
	v_mul_hi_u32 v3, v14, v3
	s_delay_alu instid0(VALU_DEP_1) | instskip(NEXT) | instid1(VALU_DEP_1)
	v_add_nc_u32_e32 v3, v14, v3
	v_mul_hi_u32 v3, v16, v3
	s_delay_alu instid0(VALU_DEP_1) | instskip(NEXT) | instid1(VALU_DEP_1)
	v_mul_lo_u32 v6, v3, s28
	v_sub_nc_u32_e32 v6, v16, v6
	s_delay_alu instid0(VALU_DEP_1) | instskip(SKIP_1) | instid1(VALU_DEP_2)
	v_subrev_nc_u32_e32 v8, s28, v6
	v_cmp_le_u32_e32 vcc_lo, s28, v6
	v_dual_cndmask_b32 v6, v6, v8 :: v_dual_add_nc_u32 v7, 1, v3
	s_delay_alu instid0(VALU_DEP_1) | instskip(NEXT) | instid1(VALU_DEP_2)
	v_cndmask_b32_e32 v3, v3, v7, vcc_lo
	v_cmp_le_u32_e32 vcc_lo, s28, v6
	s_delay_alu instid0(VALU_DEP_2) | instskip(NEXT) | instid1(VALU_DEP_1)
	v_add_nc_u32_e32 v7, 1, v3
	v_dual_cndmask_b32 v6, v3, v7 :: v_dual_mov_b32 v7, v2
.LBB16_7:                               ;   in Loop: Header=BB16_3 Depth=1
	s_or_b32 exec_lo, exec_lo, s0
	s_delay_alu instid0(VALU_DEP_1) | instskip(SKIP_1) | instid1(VALU_DEP_1)
	v_or_b32_e32 v3, s31, v7
                                        ; implicit-def: $vgpr8_vgpr9
	s_mov_b32 s0, exec_lo
	v_cmpx_ne_u64_e32 0, v[2:3]
	s_xor_b32 s46, exec_lo, s0
	s_cbranch_execz .LBB16_9
; %bb.8:                                ;   in Loop: Header=BB16_3 Depth=1
	s_ashr_i32 s44, s31, 31
	s_delay_alu instid0(SALU_CYCLE_1) | instskip(SKIP_2) | instid1(SALU_CYCLE_1)
	s_add_u32 s54, s30, s44
	s_mov_b32 s45, s44
	s_addc_u32 s55, s31, s44
	s_xor_b64 s[44:45], s[54:55], s[44:45]
	s_delay_alu instid0(SALU_CYCLE_1) | instskip(SKIP_3) | instid1(VALU_DEP_1)
	v_cvt_f32_u32_e32 v3, s44
	v_cvt_f32_u32_e32 v8, s45
	s_sub_u32 s0, 0, s44
	s_subb_u32 s47, 0, s45
	v_fmac_f32_e32 v3, 0x4f800000, v8
	s_delay_alu instid0(VALU_DEP_1) | instskip(SKIP_2) | instid1(VALU_DEP_1)
	v_rcp_f32_e32 v3, v3
	s_waitcnt_depctr 0xfff
	v_mul_f32_e32 v3, 0x5f7ffffc, v3
	v_mul_f32_e32 v8, 0x2f800000, v3
	s_delay_alu instid0(VALU_DEP_1) | instskip(NEXT) | instid1(VALU_DEP_1)
	v_trunc_f32_e32 v8, v8
	v_fmac_f32_e32 v3, 0xcf800000, v8
	v_cvt_u32_f32_e32 v8, v8
	s_delay_alu instid0(VALU_DEP_2) | instskip(NEXT) | instid1(VALU_DEP_2)
	v_cvt_u32_f32_e32 v3, v3
	v_mul_lo_u32 v9, s0, v8
	s_delay_alu instid0(VALU_DEP_2) | instskip(SKIP_1) | instid1(VALU_DEP_2)
	v_mul_hi_u32 v10, s0, v3
	v_mul_lo_u32 v11, s47, v3
	v_add_nc_u32_e32 v9, v10, v9
	v_mul_lo_u32 v10, s0, v3
	s_delay_alu instid0(VALU_DEP_2) | instskip(NEXT) | instid1(VALU_DEP_2)
	v_add_nc_u32_e32 v9, v9, v11
	v_mul_hi_u32 v11, v3, v10
	s_delay_alu instid0(VALU_DEP_2)
	v_mul_lo_u32 v12, v3, v9
	v_mul_hi_u32 v13, v3, v9
	v_mul_hi_u32 v17, v8, v10
	v_mul_lo_u32 v10, v8, v10
	v_mul_hi_u32 v18, v8, v9
	v_mul_lo_u32 v9, v8, v9
	v_add_co_u32 v11, vcc_lo, v11, v12
	v_add_co_ci_u32_e32 v12, vcc_lo, 0, v13, vcc_lo
	s_delay_alu instid0(VALU_DEP_2) | instskip(NEXT) | instid1(VALU_DEP_2)
	v_add_co_u32 v10, vcc_lo, v11, v10
	v_add_co_ci_u32_e32 v10, vcc_lo, v12, v17, vcc_lo
	v_add_co_ci_u32_e32 v11, vcc_lo, 0, v18, vcc_lo
	v_ashrrev_i32_e32 v17, 31, v7
	s_delay_alu instid0(VALU_DEP_3) | instskip(NEXT) | instid1(VALU_DEP_3)
	v_add_co_u32 v9, vcc_lo, v10, v9
	v_add_co_ci_u32_e32 v10, vcc_lo, 0, v11, vcc_lo
	s_delay_alu instid0(VALU_DEP_2) | instskip(NEXT) | instid1(VALU_DEP_2)
	v_add_co_u32 v3, vcc_lo, v3, v9
	v_add_co_ci_u32_e32 v8, vcc_lo, v8, v10, vcc_lo
	s_delay_alu instid0(VALU_DEP_2) | instskip(SKIP_1) | instid1(VALU_DEP_3)
	v_mul_hi_u32 v9, s0, v3
	v_mul_lo_u32 v11, s47, v3
	v_mul_lo_u32 v10, s0, v8
	s_delay_alu instid0(VALU_DEP_1) | instskip(SKIP_1) | instid1(VALU_DEP_2)
	v_add_nc_u32_e32 v9, v9, v10
	v_mul_lo_u32 v10, s0, v3
	v_add_nc_u32_e32 v9, v9, v11
	s_delay_alu instid0(VALU_DEP_2) | instskip(NEXT) | instid1(VALU_DEP_2)
	v_mul_hi_u32 v11, v3, v10
	v_mul_lo_u32 v12, v3, v9
	v_mul_hi_u32 v13, v3, v9
	v_mul_hi_u32 v18, v8, v10
	v_mul_lo_u32 v10, v8, v10
	v_mul_hi_u32 v19, v8, v9
	v_mul_lo_u32 v9, v8, v9
	v_add_co_u32 v11, vcc_lo, v11, v12
	v_add_co_ci_u32_e32 v12, vcc_lo, 0, v13, vcc_lo
	s_delay_alu instid0(VALU_DEP_2) | instskip(NEXT) | instid1(VALU_DEP_2)
	v_add_co_u32 v10, vcc_lo, v11, v10
	v_add_co_ci_u32_e32 v10, vcc_lo, v12, v18, vcc_lo
	v_add_co_ci_u32_e32 v11, vcc_lo, 0, v19, vcc_lo
	v_add_co_u32 v12, vcc_lo, v6, v17
	v_add_co_ci_u32_e32 v13, vcc_lo, v7, v17, vcc_lo
	s_delay_alu instid0(VALU_DEP_4) | instskip(NEXT) | instid1(VALU_DEP_4)
	v_add_co_u32 v9, vcc_lo, v10, v9
	v_add_co_ci_u32_e32 v10, vcc_lo, 0, v11, vcc_lo
	s_delay_alu instid0(VALU_DEP_4) | instskip(NEXT) | instid1(VALU_DEP_3)
	v_xor_b32_e32 v18, v12, v17
	v_add_co_u32 v3, vcc_lo, v3, v9
	s_delay_alu instid0(VALU_DEP_3) | instskip(SKIP_1) | instid1(VALU_DEP_3)
	v_add_co_ci_u32_e32 v19, vcc_lo, v8, v10, vcc_lo
	v_xor_b32_e32 v20, v13, v17
	v_mul_hi_u32 v21, v18, v3
	s_delay_alu instid0(VALU_DEP_3) | instskip(NEXT) | instid1(VALU_DEP_3)
	v_mad_u64_u32 v[8:9], null, v18, v19, 0
	v_mad_u64_u32 v[10:11], null, v20, v3, 0
	;; [unrolled: 1-line block ×3, first 2 shown]
	s_delay_alu instid0(VALU_DEP_3) | instskip(NEXT) | instid1(VALU_DEP_4)
	v_add_co_u32 v3, vcc_lo, v21, v8
	v_add_co_ci_u32_e32 v8, vcc_lo, 0, v9, vcc_lo
	s_delay_alu instid0(VALU_DEP_2) | instskip(NEXT) | instid1(VALU_DEP_2)
	v_add_co_u32 v3, vcc_lo, v3, v10
	v_add_co_ci_u32_e32 v3, vcc_lo, v8, v11, vcc_lo
	v_add_co_ci_u32_e32 v8, vcc_lo, 0, v13, vcc_lo
	s_delay_alu instid0(VALU_DEP_2) | instskip(NEXT) | instid1(VALU_DEP_2)
	v_add_co_u32 v3, vcc_lo, v3, v12
	v_add_co_ci_u32_e32 v10, vcc_lo, 0, v8, vcc_lo
	s_delay_alu instid0(VALU_DEP_2) | instskip(SKIP_1) | instid1(VALU_DEP_3)
	v_mul_lo_u32 v11, s45, v3
	v_mad_u64_u32 v[8:9], null, s44, v3, 0
	v_mul_lo_u32 v3, s44, v10
	s_delay_alu instid0(VALU_DEP_2) | instskip(NEXT) | instid1(VALU_DEP_2)
	v_sub_co_u32 v8, vcc_lo, v18, v8
	v_add3_u32 v3, v9, v3, v11
	s_delay_alu instid0(VALU_DEP_1) | instskip(NEXT) | instid1(VALU_DEP_1)
	v_sub_nc_u32_e32 v9, v20, v3
	v_subrev_co_ci_u32_e64 v9, s0, s45, v9, vcc_lo
	v_sub_co_ci_u32_e32 v3, vcc_lo, v20, v3, vcc_lo
	v_sub_co_u32 v10, vcc_lo, v8, s44
	s_delay_alu instid0(VALU_DEP_1) | instskip(SKIP_3) | instid1(VALU_DEP_3)
	v_subrev_co_ci_u32_e64 v11, s0, 0, v9, vcc_lo
	v_cmp_le_u32_e64 s0, s44, v8
	v_subrev_co_ci_u32_e32 v9, vcc_lo, s45, v9, vcc_lo
	v_cmp_le_u32_e32 vcc_lo, s45, v3
	v_cndmask_b32_e64 v12, 0, -1, s0
	v_cmp_le_u32_e64 s0, s44, v10
	v_cndmask_b32_e64 v19, 0, -1, vcc_lo
	v_cmp_eq_u32_e32 vcc_lo, s45, v11
	s_delay_alu instid0(VALU_DEP_3) | instskip(SKIP_1) | instid1(VALU_DEP_1)
	v_cndmask_b32_e64 v13, 0, -1, s0
	v_cmp_le_u32_e64 s0, s45, v11
	v_cndmask_b32_e64 v18, 0, -1, s0
	v_cmp_eq_u32_e64 s0, s45, v3
	s_delay_alu instid0(VALU_DEP_2) | instskip(SKIP_2) | instid1(VALU_DEP_3)
	v_cndmask_b32_e32 v13, v18, v13, vcc_lo
	v_sub_co_u32 v18, vcc_lo, v10, s44
	v_subrev_co_ci_u32_e32 v9, vcc_lo, 0, v9, vcc_lo
	v_cmp_ne_u32_e32 vcc_lo, 0, v13
	v_cndmask_b32_e64 v12, v19, v12, s0
	s_delay_alu instid0(VALU_DEP_3) | instskip(NEXT) | instid1(VALU_DEP_2)
	v_dual_cndmask_b32 v9, v11, v9 :: v_dual_cndmask_b32 v10, v10, v18
	v_cmp_ne_u32_e32 vcc_lo, 0, v12
	s_delay_alu instid0(VALU_DEP_2) | instskip(NEXT) | instid1(VALU_DEP_1)
	v_dual_cndmask_b32 v8, v8, v10 :: v_dual_cndmask_b32 v3, v3, v9
	v_xor_b32_e32 v8, v8, v17
	s_delay_alu instid0(VALU_DEP_2) | instskip(NEXT) | instid1(VALU_DEP_2)
	v_xor_b32_e32 v3, v3, v17
	v_sub_co_u32 v8, vcc_lo, v8, v17
	s_delay_alu instid0(VALU_DEP_2)
	v_sub_co_ci_u32_e32 v9, vcc_lo, v3, v17, vcc_lo
.LBB16_9:                               ;   in Loop: Header=BB16_3 Depth=1
	s_and_not1_saveexec_b32 s0, s46
	s_cbranch_execz .LBB16_11
; %bb.10:                               ;   in Loop: Header=BB16_3 Depth=1
	v_cvt_f32_u32_e32 v3, s30
	s_sub_i32 s44, 0, s30
	v_mov_b32_e32 v9, v2
	s_delay_alu instid0(VALU_DEP_2) | instskip(SKIP_2) | instid1(VALU_DEP_1)
	v_rcp_iflag_f32_e32 v3, v3
	s_waitcnt_depctr 0xfff
	v_mul_f32_e32 v3, 0x4f7ffffe, v3
	v_cvt_u32_f32_e32 v3, v3
	s_delay_alu instid0(VALU_DEP_1) | instskip(NEXT) | instid1(VALU_DEP_1)
	v_mul_lo_u32 v8, s44, v3
	v_mul_hi_u32 v8, v3, v8
	s_delay_alu instid0(VALU_DEP_1) | instskip(NEXT) | instid1(VALU_DEP_1)
	v_add_nc_u32_e32 v3, v3, v8
	v_mul_hi_u32 v3, v6, v3
	s_delay_alu instid0(VALU_DEP_1) | instskip(NEXT) | instid1(VALU_DEP_1)
	v_mul_lo_u32 v3, v3, s30
	v_sub_nc_u32_e32 v3, v6, v3
	s_delay_alu instid0(VALU_DEP_1) | instskip(SKIP_1) | instid1(VALU_DEP_2)
	v_subrev_nc_u32_e32 v8, s30, v3
	v_cmp_le_u32_e32 vcc_lo, s30, v3
	v_cndmask_b32_e32 v3, v3, v8, vcc_lo
	s_delay_alu instid0(VALU_DEP_1) | instskip(SKIP_1) | instid1(VALU_DEP_2)
	v_subrev_nc_u32_e32 v8, s30, v3
	v_cmp_le_u32_e32 vcc_lo, s30, v3
	v_cndmask_b32_e32 v8, v3, v8, vcc_lo
.LBB16_11:                              ;   in Loop: Header=BB16_3 Depth=1
	s_or_b32 exec_lo, exec_lo, s0
	v_or_b32_e32 v3, s1, v15
                                        ; implicit-def: $vgpr12_vgpr13
	s_mov_b32 s0, exec_lo
	s_delay_alu instid0(VALU_DEP_1)
	v_cmpx_ne_u64_e32 0, v[2:3]
	s_xor_b32 s54, exec_lo, s0
	s_cbranch_execz .LBB16_13
; %bb.12:                               ;   in Loop: Header=BB16_3 Depth=1
	s_ashr_i32 s44, s1, 31
	s_delay_alu instid0(SALU_CYCLE_1) | instskip(SKIP_2) | instid1(SALU_CYCLE_1)
	s_add_u32 s46, s33, s44
	s_mov_b32 s45, s44
	s_addc_u32 s47, s1, s44
	s_xor_b64 s[46:47], s[46:47], s[44:45]
	s_delay_alu instid0(SALU_CYCLE_1) | instskip(SKIP_3) | instid1(VALU_DEP_1)
	v_cvt_f32_u32_e32 v3, s46
	v_cvt_f32_u32_e32 v10, s47
	s_sub_u32 s0, 0, s46
	s_subb_u32 s45, 0, s47
	v_fmac_f32_e32 v3, 0x4f800000, v10
	s_delay_alu instid0(VALU_DEP_1) | instskip(SKIP_2) | instid1(VALU_DEP_1)
	v_rcp_f32_e32 v3, v3
	s_waitcnt_depctr 0xfff
	v_mul_f32_e32 v3, 0x5f7ffffc, v3
	v_mul_f32_e32 v10, 0x2f800000, v3
	s_delay_alu instid0(VALU_DEP_1) | instskip(NEXT) | instid1(VALU_DEP_1)
	v_trunc_f32_e32 v10, v10
	v_fmac_f32_e32 v3, 0xcf800000, v10
	v_cvt_u32_f32_e32 v10, v10
	s_delay_alu instid0(VALU_DEP_2) | instskip(NEXT) | instid1(VALU_DEP_2)
	v_cvt_u32_f32_e32 v3, v3
	v_mul_lo_u32 v11, s0, v10
	s_delay_alu instid0(VALU_DEP_2) | instskip(SKIP_1) | instid1(VALU_DEP_2)
	v_mul_hi_u32 v12, s0, v3
	v_mul_lo_u32 v13, s45, v3
	v_add_nc_u32_e32 v11, v12, v11
	v_mul_lo_u32 v12, s0, v3
	s_delay_alu instid0(VALU_DEP_2) | instskip(NEXT) | instid1(VALU_DEP_2)
	v_add_nc_u32_e32 v11, v11, v13
	v_mul_hi_u32 v13, v3, v12
	s_delay_alu instid0(VALU_DEP_2)
	v_mul_lo_u32 v17, v3, v11
	v_mul_hi_u32 v18, v3, v11
	v_mul_hi_u32 v19, v10, v12
	v_mul_lo_u32 v12, v10, v12
	v_mul_hi_u32 v20, v10, v11
	v_mul_lo_u32 v11, v10, v11
	v_add_co_u32 v13, vcc_lo, v13, v17
	v_add_co_ci_u32_e32 v17, vcc_lo, 0, v18, vcc_lo
	s_delay_alu instid0(VALU_DEP_2) | instskip(NEXT) | instid1(VALU_DEP_2)
	v_add_co_u32 v12, vcc_lo, v13, v12
	v_add_co_ci_u32_e32 v12, vcc_lo, v17, v19, vcc_lo
	v_add_co_ci_u32_e32 v13, vcc_lo, 0, v20, vcc_lo
	v_ashrrev_i32_e32 v19, 31, v15
	s_delay_alu instid0(VALU_DEP_3) | instskip(NEXT) | instid1(VALU_DEP_3)
	v_add_co_u32 v11, vcc_lo, v12, v11
	v_add_co_ci_u32_e32 v12, vcc_lo, 0, v13, vcc_lo
	s_delay_alu instid0(VALU_DEP_2) | instskip(NEXT) | instid1(VALU_DEP_2)
	v_add_co_u32 v3, vcc_lo, v3, v11
	v_add_co_ci_u32_e32 v10, vcc_lo, v10, v12, vcc_lo
	s_delay_alu instid0(VALU_DEP_2) | instskip(SKIP_1) | instid1(VALU_DEP_3)
	v_mul_hi_u32 v11, s0, v3
	v_mul_lo_u32 v13, s45, v3
	v_mul_lo_u32 v12, s0, v10
	s_delay_alu instid0(VALU_DEP_1) | instskip(SKIP_1) | instid1(VALU_DEP_2)
	v_add_nc_u32_e32 v11, v11, v12
	v_mul_lo_u32 v12, s0, v3
	v_add_nc_u32_e32 v11, v11, v13
	s_delay_alu instid0(VALU_DEP_2) | instskip(NEXT) | instid1(VALU_DEP_2)
	v_mul_hi_u32 v13, v3, v12
	v_mul_lo_u32 v17, v3, v11
	v_mul_hi_u32 v18, v3, v11
	v_mul_hi_u32 v20, v10, v12
	v_mul_lo_u32 v12, v10, v12
	v_mul_hi_u32 v21, v10, v11
	v_mul_lo_u32 v11, v10, v11
	v_add_co_u32 v13, vcc_lo, v13, v17
	v_add_co_ci_u32_e32 v17, vcc_lo, 0, v18, vcc_lo
	s_delay_alu instid0(VALU_DEP_2) | instskip(NEXT) | instid1(VALU_DEP_2)
	v_add_co_u32 v12, vcc_lo, v13, v12
	v_add_co_ci_u32_e32 v12, vcc_lo, v17, v20, vcc_lo
	v_add_co_ci_u32_e32 v13, vcc_lo, 0, v21, vcc_lo
	v_add_co_u32 v17, vcc_lo, v16, v19
	v_add_co_ci_u32_e32 v18, vcc_lo, v15, v19, vcc_lo
	s_delay_alu instid0(VALU_DEP_4) | instskip(NEXT) | instid1(VALU_DEP_4)
	v_add_co_u32 v11, vcc_lo, v12, v11
	v_add_co_ci_u32_e32 v12, vcc_lo, 0, v13, vcc_lo
	s_delay_alu instid0(VALU_DEP_4) | instskip(NEXT) | instid1(VALU_DEP_3)
	v_xor_b32_e32 v20, v17, v19
	v_add_co_u32 v3, vcc_lo, v3, v11
	s_delay_alu instid0(VALU_DEP_3) | instskip(SKIP_1) | instid1(VALU_DEP_3)
	v_add_co_ci_u32_e32 v21, vcc_lo, v10, v12, vcc_lo
	v_xor_b32_e32 v22, v18, v19
	v_mul_hi_u32 v23, v20, v3
	s_delay_alu instid0(VALU_DEP_3) | instskip(NEXT) | instid1(VALU_DEP_3)
	v_mad_u64_u32 v[10:11], null, v20, v21, 0
	v_mad_u64_u32 v[12:13], null, v22, v3, 0
	;; [unrolled: 1-line block ×3, first 2 shown]
	s_delay_alu instid0(VALU_DEP_3) | instskip(NEXT) | instid1(VALU_DEP_4)
	v_add_co_u32 v3, vcc_lo, v23, v10
	v_add_co_ci_u32_e32 v10, vcc_lo, 0, v11, vcc_lo
	s_delay_alu instid0(VALU_DEP_2) | instskip(NEXT) | instid1(VALU_DEP_2)
	v_add_co_u32 v3, vcc_lo, v3, v12
	v_add_co_ci_u32_e32 v3, vcc_lo, v10, v13, vcc_lo
	v_add_co_ci_u32_e32 v10, vcc_lo, 0, v18, vcc_lo
	s_delay_alu instid0(VALU_DEP_2) | instskip(NEXT) | instid1(VALU_DEP_2)
	v_add_co_u32 v3, vcc_lo, v3, v17
	v_add_co_ci_u32_e32 v12, vcc_lo, 0, v10, vcc_lo
	s_delay_alu instid0(VALU_DEP_2) | instskip(SKIP_1) | instid1(VALU_DEP_3)
	v_mul_lo_u32 v13, s47, v3
	v_mad_u64_u32 v[10:11], null, s46, v3, 0
	v_mul_lo_u32 v17, s46, v12
	s_delay_alu instid0(VALU_DEP_2) | instskip(NEXT) | instid1(VALU_DEP_2)
	v_sub_co_u32 v10, vcc_lo, v20, v10
	v_add3_u32 v11, v11, v17, v13
	s_delay_alu instid0(VALU_DEP_1) | instskip(NEXT) | instid1(VALU_DEP_1)
	v_sub_nc_u32_e32 v13, v22, v11
	v_subrev_co_ci_u32_e64 v13, s0, s47, v13, vcc_lo
	v_add_co_u32 v17, s0, v3, 2
	s_delay_alu instid0(VALU_DEP_1) | instskip(SKIP_3) | instid1(VALU_DEP_3)
	v_add_co_ci_u32_e64 v18, s0, 0, v12, s0
	v_sub_co_u32 v20, s0, v10, s46
	v_sub_co_ci_u32_e32 v11, vcc_lo, v22, v11, vcc_lo
	v_subrev_co_ci_u32_e64 v13, s0, 0, v13, s0
	v_cmp_le_u32_e32 vcc_lo, s46, v20
	s_delay_alu instid0(VALU_DEP_3) | instskip(SKIP_1) | instid1(VALU_DEP_4)
	v_cmp_eq_u32_e64 s0, s47, v11
	v_cndmask_b32_e64 v20, 0, -1, vcc_lo
	v_cmp_le_u32_e32 vcc_lo, s47, v13
	v_cndmask_b32_e64 v21, 0, -1, vcc_lo
	v_cmp_le_u32_e32 vcc_lo, s46, v10
	;; [unrolled: 2-line block ×3, first 2 shown]
	v_cndmask_b32_e64 v22, 0, -1, vcc_lo
	v_cmp_eq_u32_e32 vcc_lo, s47, v13
	s_delay_alu instid0(VALU_DEP_2) | instskip(SKIP_3) | instid1(VALU_DEP_3)
	v_cndmask_b32_e64 v10, v22, v10, s0
	v_cndmask_b32_e32 v13, v21, v20, vcc_lo
	v_add_co_u32 v20, vcc_lo, v3, 1
	v_add_co_ci_u32_e32 v21, vcc_lo, 0, v12, vcc_lo
	v_cmp_ne_u32_e32 vcc_lo, 0, v13
	s_delay_alu instid0(VALU_DEP_2) | instskip(NEXT) | instid1(VALU_DEP_4)
	v_cndmask_b32_e32 v11, v21, v18, vcc_lo
	v_cndmask_b32_e32 v13, v20, v17, vcc_lo
	v_cmp_ne_u32_e32 vcc_lo, 0, v10
	v_xor_b32_e32 v10, s44, v19
	s_delay_alu instid0(VALU_DEP_3) | instskip(SKIP_1) | instid1(VALU_DEP_2)
	v_cndmask_b32_e32 v3, v3, v13, vcc_lo
	v_cndmask_b32_e32 v11, v12, v11, vcc_lo
	v_xor_b32_e32 v3, v3, v10
	s_delay_alu instid0(VALU_DEP_2) | instskip(NEXT) | instid1(VALU_DEP_2)
	v_xor_b32_e32 v11, v11, v10
	v_sub_co_u32 v12, vcc_lo, v3, v10
	s_delay_alu instid0(VALU_DEP_2)
	v_sub_co_ci_u32_e32 v13, vcc_lo, v11, v10, vcc_lo
.LBB16_13:                              ;   in Loop: Header=BB16_3 Depth=1
	s_and_not1_saveexec_b32 s0, s54
	s_cbranch_execz .LBB16_15
; %bb.14:                               ;   in Loop: Header=BB16_3 Depth=1
	v_cvt_f32_u32_e32 v3, s33
	s_sub_i32 s44, 0, s33
	v_mov_b32_e32 v13, v2
	s_delay_alu instid0(VALU_DEP_2) | instskip(SKIP_2) | instid1(VALU_DEP_1)
	v_rcp_iflag_f32_e32 v3, v3
	s_waitcnt_depctr 0xfff
	v_mul_f32_e32 v3, 0x4f7ffffe, v3
	v_cvt_u32_f32_e32 v3, v3
	s_delay_alu instid0(VALU_DEP_1) | instskip(NEXT) | instid1(VALU_DEP_1)
	v_mul_lo_u32 v10, s44, v3
	v_mul_hi_u32 v10, v3, v10
	s_delay_alu instid0(VALU_DEP_1) | instskip(NEXT) | instid1(VALU_DEP_1)
	v_add_nc_u32_e32 v3, v3, v10
	v_mul_hi_u32 v3, v1, v3
	s_delay_alu instid0(VALU_DEP_1) | instskip(SKIP_1) | instid1(VALU_DEP_2)
	v_mul_lo_u32 v10, v3, s33
	v_add_nc_u32_e32 v11, 1, v3
	v_sub_nc_u32_e32 v10, v1, v10
	s_delay_alu instid0(VALU_DEP_1) | instskip(SKIP_1) | instid1(VALU_DEP_2)
	v_subrev_nc_u32_e32 v12, s33, v10
	v_cmp_le_u32_e32 vcc_lo, s33, v10
	v_dual_cndmask_b32 v10, v10, v12 :: v_dual_cndmask_b32 v3, v3, v11
	s_delay_alu instid0(VALU_DEP_1) | instskip(NEXT) | instid1(VALU_DEP_2)
	v_cmp_le_u32_e32 vcc_lo, s33, v10
	v_add_nc_u32_e32 v11, 1, v3
	s_delay_alu instid0(VALU_DEP_1)
	v_cndmask_b32_e32 v12, v3, v11, vcc_lo
.LBB16_15:                              ;   in Loop: Header=BB16_3 Depth=1
	s_or_b32 exec_lo, exec_lo, s0
	s_delay_alu instid0(VALU_DEP_1) | instskip(SKIP_1) | instid1(VALU_DEP_1)
	v_or_b32_e32 v3, s41, v13
                                        ; implicit-def: $vgpr10_vgpr11
	s_mov_b32 s0, exec_lo
	v_cmpx_ne_u64_e32 0, v[2:3]
	s_xor_b32 s46, exec_lo, s0
	s_cbranch_execz .LBB16_17
; %bb.16:                               ;   in Loop: Header=BB16_3 Depth=1
	s_ashr_i32 s44, s41, 31
	s_delay_alu instid0(SALU_CYCLE_1) | instskip(SKIP_2) | instid1(SALU_CYCLE_1)
	s_add_u32 s54, s40, s44
	s_mov_b32 s45, s44
	s_addc_u32 s55, s41, s44
	s_xor_b64 s[44:45], s[54:55], s[44:45]
	s_delay_alu instid0(SALU_CYCLE_1) | instskip(SKIP_3) | instid1(VALU_DEP_1)
	v_cvt_f32_u32_e32 v3, s44
	v_cvt_f32_u32_e32 v10, s45
	s_sub_u32 s0, 0, s44
	s_subb_u32 s47, 0, s45
	v_fmac_f32_e32 v3, 0x4f800000, v10
	s_delay_alu instid0(VALU_DEP_1) | instskip(SKIP_2) | instid1(VALU_DEP_1)
	v_rcp_f32_e32 v3, v3
	s_waitcnt_depctr 0xfff
	v_mul_f32_e32 v3, 0x5f7ffffc, v3
	v_mul_f32_e32 v10, 0x2f800000, v3
	s_delay_alu instid0(VALU_DEP_1) | instskip(NEXT) | instid1(VALU_DEP_1)
	v_trunc_f32_e32 v10, v10
	v_fmac_f32_e32 v3, 0xcf800000, v10
	v_cvt_u32_f32_e32 v10, v10
	s_delay_alu instid0(VALU_DEP_2) | instskip(NEXT) | instid1(VALU_DEP_2)
	v_cvt_u32_f32_e32 v3, v3
	v_mul_lo_u32 v11, s0, v10
	s_delay_alu instid0(VALU_DEP_2) | instskip(SKIP_1) | instid1(VALU_DEP_2)
	v_mul_hi_u32 v17, s0, v3
	v_mul_lo_u32 v18, s47, v3
	v_add_nc_u32_e32 v11, v17, v11
	v_mul_lo_u32 v17, s0, v3
	s_delay_alu instid0(VALU_DEP_2) | instskip(NEXT) | instid1(VALU_DEP_2)
	v_add_nc_u32_e32 v11, v11, v18
	v_mul_hi_u32 v18, v3, v17
	s_delay_alu instid0(VALU_DEP_2)
	v_mul_lo_u32 v19, v3, v11
	v_mul_hi_u32 v20, v3, v11
	v_mul_hi_u32 v21, v10, v17
	v_mul_lo_u32 v17, v10, v17
	v_mul_hi_u32 v22, v10, v11
	v_mul_lo_u32 v11, v10, v11
	v_add_co_u32 v18, vcc_lo, v18, v19
	v_add_co_ci_u32_e32 v19, vcc_lo, 0, v20, vcc_lo
	s_delay_alu instid0(VALU_DEP_2) | instskip(NEXT) | instid1(VALU_DEP_2)
	v_add_co_u32 v17, vcc_lo, v18, v17
	v_add_co_ci_u32_e32 v17, vcc_lo, v19, v21, vcc_lo
	v_add_co_ci_u32_e32 v18, vcc_lo, 0, v22, vcc_lo
	v_ashrrev_i32_e32 v21, 31, v13
	s_delay_alu instid0(VALU_DEP_3) | instskip(NEXT) | instid1(VALU_DEP_3)
	v_add_co_u32 v11, vcc_lo, v17, v11
	v_add_co_ci_u32_e32 v17, vcc_lo, 0, v18, vcc_lo
	s_delay_alu instid0(VALU_DEP_2) | instskip(NEXT) | instid1(VALU_DEP_2)
	v_add_co_u32 v3, vcc_lo, v3, v11
	v_add_co_ci_u32_e32 v10, vcc_lo, v10, v17, vcc_lo
	s_delay_alu instid0(VALU_DEP_2) | instskip(SKIP_1) | instid1(VALU_DEP_3)
	v_mul_hi_u32 v11, s0, v3
	v_mul_lo_u32 v18, s47, v3
	v_mul_lo_u32 v17, s0, v10
	s_delay_alu instid0(VALU_DEP_1) | instskip(SKIP_1) | instid1(VALU_DEP_2)
	v_add_nc_u32_e32 v11, v11, v17
	v_mul_lo_u32 v17, s0, v3
	v_add_nc_u32_e32 v11, v11, v18
	s_delay_alu instid0(VALU_DEP_2) | instskip(NEXT) | instid1(VALU_DEP_2)
	v_mul_hi_u32 v18, v3, v17
	v_mul_lo_u32 v19, v3, v11
	v_mul_hi_u32 v20, v3, v11
	v_mul_hi_u32 v22, v10, v17
	v_mul_lo_u32 v17, v10, v17
	v_mul_hi_u32 v23, v10, v11
	v_mul_lo_u32 v11, v10, v11
	v_add_co_u32 v18, vcc_lo, v18, v19
	v_add_co_ci_u32_e32 v19, vcc_lo, 0, v20, vcc_lo
	s_delay_alu instid0(VALU_DEP_2) | instskip(NEXT) | instid1(VALU_DEP_2)
	v_add_co_u32 v17, vcc_lo, v18, v17
	v_add_co_ci_u32_e32 v17, vcc_lo, v19, v22, vcc_lo
	v_add_co_ci_u32_e32 v18, vcc_lo, 0, v23, vcc_lo
	v_add_co_u32 v12, vcc_lo, v12, v21
	v_add_co_ci_u32_e32 v13, vcc_lo, v13, v21, vcc_lo
	s_delay_alu instid0(VALU_DEP_4) | instskip(NEXT) | instid1(VALU_DEP_4)
	v_add_co_u32 v11, vcc_lo, v17, v11
	v_add_co_ci_u32_e32 v17, vcc_lo, 0, v18, vcc_lo
	s_delay_alu instid0(VALU_DEP_4) | instskip(NEXT) | instid1(VALU_DEP_3)
	v_xor_b32_e32 v19, v12, v21
	v_add_co_u32 v3, vcc_lo, v3, v11
	s_delay_alu instid0(VALU_DEP_3) | instskip(SKIP_1) | instid1(VALU_DEP_3)
	v_add_co_ci_u32_e32 v20, vcc_lo, v10, v17, vcc_lo
	v_xor_b32_e32 v22, v13, v21
	v_mul_hi_u32 v23, v19, v3
	s_delay_alu instid0(VALU_DEP_3) | instskip(NEXT) | instid1(VALU_DEP_3)
	v_mad_u64_u32 v[10:11], null, v19, v20, 0
	v_mad_u64_u32 v[12:13], null, v22, v3, 0
	;; [unrolled: 1-line block ×3, first 2 shown]
	s_delay_alu instid0(VALU_DEP_3) | instskip(NEXT) | instid1(VALU_DEP_4)
	v_add_co_u32 v3, vcc_lo, v23, v10
	v_add_co_ci_u32_e32 v10, vcc_lo, 0, v11, vcc_lo
	s_delay_alu instid0(VALU_DEP_2) | instskip(NEXT) | instid1(VALU_DEP_2)
	v_add_co_u32 v3, vcc_lo, v3, v12
	v_add_co_ci_u32_e32 v3, vcc_lo, v10, v13, vcc_lo
	v_add_co_ci_u32_e32 v10, vcc_lo, 0, v18, vcc_lo
	s_delay_alu instid0(VALU_DEP_2) | instskip(NEXT) | instid1(VALU_DEP_2)
	v_add_co_u32 v3, vcc_lo, v3, v17
	v_add_co_ci_u32_e32 v12, vcc_lo, 0, v10, vcc_lo
	s_delay_alu instid0(VALU_DEP_2) | instskip(SKIP_1) | instid1(VALU_DEP_3)
	v_mul_lo_u32 v13, s45, v3
	v_mad_u64_u32 v[10:11], null, s44, v3, 0
	v_mul_lo_u32 v3, s44, v12
	s_delay_alu instid0(VALU_DEP_2) | instskip(NEXT) | instid1(VALU_DEP_2)
	v_sub_co_u32 v10, vcc_lo, v19, v10
	v_add3_u32 v3, v11, v3, v13
	s_delay_alu instid0(VALU_DEP_1) | instskip(NEXT) | instid1(VALU_DEP_1)
	v_sub_nc_u32_e32 v11, v22, v3
	v_subrev_co_ci_u32_e64 v11, s0, s45, v11, vcc_lo
	v_sub_co_ci_u32_e32 v3, vcc_lo, v22, v3, vcc_lo
	v_sub_co_u32 v12, vcc_lo, v10, s44
	s_delay_alu instid0(VALU_DEP_1) | instskip(SKIP_3) | instid1(VALU_DEP_3)
	v_subrev_co_ci_u32_e64 v13, s0, 0, v11, vcc_lo
	v_cmp_le_u32_e64 s0, s44, v10
	v_subrev_co_ci_u32_e32 v11, vcc_lo, s45, v11, vcc_lo
	v_cmp_le_u32_e32 vcc_lo, s45, v3
	v_cndmask_b32_e64 v17, 0, -1, s0
	v_cmp_le_u32_e64 s0, s44, v12
	v_cndmask_b32_e64 v20, 0, -1, vcc_lo
	v_cmp_eq_u32_e32 vcc_lo, s45, v13
	s_delay_alu instid0(VALU_DEP_3) | instskip(SKIP_1) | instid1(VALU_DEP_1)
	v_cndmask_b32_e64 v18, 0, -1, s0
	v_cmp_le_u32_e64 s0, s45, v13
	v_cndmask_b32_e64 v19, 0, -1, s0
	v_cmp_eq_u32_e64 s0, s45, v3
	s_delay_alu instid0(VALU_DEP_2) | instskip(SKIP_2) | instid1(VALU_DEP_3)
	v_cndmask_b32_e32 v18, v19, v18, vcc_lo
	v_sub_co_u32 v19, vcc_lo, v12, s44
	v_subrev_co_ci_u32_e32 v11, vcc_lo, 0, v11, vcc_lo
	v_cmp_ne_u32_e32 vcc_lo, 0, v18
	v_cndmask_b32_e64 v17, v20, v17, s0
	s_delay_alu instid0(VALU_DEP_3) | instskip(SKIP_1) | instid1(VALU_DEP_3)
	v_cndmask_b32_e32 v11, v13, v11, vcc_lo
	v_cndmask_b32_e32 v12, v12, v19, vcc_lo
	v_cmp_ne_u32_e32 vcc_lo, 0, v17
	s_delay_alu instid0(VALU_DEP_2) | instskip(NEXT) | instid1(VALU_DEP_1)
	v_dual_cndmask_b32 v10, v10, v12 :: v_dual_cndmask_b32 v3, v3, v11
                                        ; implicit-def: $vgpr12_vgpr13
	v_xor_b32_e32 v10, v10, v21
	s_delay_alu instid0(VALU_DEP_2) | instskip(NEXT) | instid1(VALU_DEP_2)
	v_xor_b32_e32 v3, v3, v21
	v_sub_co_u32 v10, vcc_lo, v10, v21
	s_delay_alu instid0(VALU_DEP_2)
	v_sub_co_ci_u32_e32 v11, vcc_lo, v3, v21, vcc_lo
.LBB16_17:                              ;   in Loop: Header=BB16_3 Depth=1
	s_and_not1_saveexec_b32 s0, s46
	s_cbranch_execz .LBB16_19
; %bb.18:                               ;   in Loop: Header=BB16_3 Depth=1
	v_cvt_f32_u32_e32 v3, s40
	s_sub_i32 s44, 0, s40
	v_mov_b32_e32 v11, v2
	s_delay_alu instid0(VALU_DEP_2) | instskip(SKIP_2) | instid1(VALU_DEP_1)
	v_rcp_iflag_f32_e32 v3, v3
	s_waitcnt_depctr 0xfff
	v_mul_f32_e32 v3, 0x4f7ffffe, v3
	v_cvt_u32_f32_e32 v3, v3
	s_delay_alu instid0(VALU_DEP_1) | instskip(NEXT) | instid1(VALU_DEP_1)
	v_mul_lo_u32 v10, s44, v3
	v_mul_hi_u32 v10, v3, v10
	s_delay_alu instid0(VALU_DEP_1) | instskip(NEXT) | instid1(VALU_DEP_1)
	v_add_nc_u32_e32 v3, v3, v10
	v_mul_hi_u32 v3, v12, v3
	s_delay_alu instid0(VALU_DEP_1) | instskip(NEXT) | instid1(VALU_DEP_1)
	v_mul_lo_u32 v3, v3, s40
	v_sub_nc_u32_e32 v3, v12, v3
	s_delay_alu instid0(VALU_DEP_1) | instskip(SKIP_1) | instid1(VALU_DEP_2)
	v_subrev_nc_u32_e32 v10, s40, v3
	v_cmp_le_u32_e32 vcc_lo, s40, v3
	v_cndmask_b32_e32 v3, v3, v10, vcc_lo
	s_delay_alu instid0(VALU_DEP_1) | instskip(SKIP_1) | instid1(VALU_DEP_2)
	v_subrev_nc_u32_e32 v10, s40, v3
	v_cmp_le_u32_e32 vcc_lo, s40, v3
	v_cndmask_b32_e32 v10, v3, v10, vcc_lo
.LBB16_19:                              ;   in Loop: Header=BB16_3 Depth=1
	s_or_b32 exec_lo, exec_lo, s0
	v_mul_lo_u32 v3, v7, s28
	v_mul_lo_u32 v7, v6, s29
	v_mad_u64_u32 v[12:13], null, v6, s28, 0
	v_mul_lo_u32 v18, s7, v8
	v_mul_lo_u32 v19, s6, v9
	;; [unrolled: 1-line block ×4, first 2 shown]
	s_mov_b32 s44, -1
	s_mov_b32 s0, -1
	v_add3_u32 v6, v13, v7, v3
	v_sub_co_u32 v3, vcc_lo, v16, v12
	v_mad_u64_u32 v[12:13], null, s6, v8, 0
	s_delay_alu instid0(VALU_DEP_3) | instskip(NEXT) | instid1(VALU_DEP_3)
	v_sub_co_ci_u32_e32 v15, vcc_lo, v15, v6, vcc_lo
	v_mul_lo_u32 v16, s5, v3
	v_mad_u64_u32 v[6:7], null, s4, v3, 0
	s_delay_alu instid0(VALU_DEP_3) | instskip(SKIP_2) | instid1(VALU_DEP_1)
	v_mul_lo_u32 v17, s4, v15
	v_add3_u32 v13, v13, v19, v18
	s_mov_b32 s45, exec_lo
                                        ; implicit-def: $sgpr47
	v_lshlrev_b64 v[12:13], 3, v[12:13]
	s_delay_alu instid0(VALU_DEP_3) | instskip(SKIP_1) | instid1(VALU_DEP_2)
	v_add3_u32 v7, v7, v17, v16
	v_mad_u64_u32 v[16:17], null, s8, v10, 0
	v_lshlrev_b64 v[6:7], 3, v[6:7]
	s_delay_alu instid0(VALU_DEP_2) | instskip(NEXT) | instid1(VALU_DEP_2)
	v_add3_u32 v17, v17, v21, v20
	v_add_co_u32 v18, vcc_lo, s34, v6
	s_delay_alu instid0(VALU_DEP_3) | instskip(NEXT) | instid1(VALU_DEP_3)
	v_add_co_ci_u32_e32 v19, vcc_lo, s35, v7, vcc_lo
	v_lshlrev_b64 v[6:7], 3, v[16:17]
	s_delay_alu instid0(VALU_DEP_3) | instskip(NEXT) | instid1(VALU_DEP_3)
	v_add_co_u32 v12, vcc_lo, v18, v12
	v_add_co_ci_u32_e32 v13, vcc_lo, v19, v13, vcc_lo
	s_delay_alu instid0(VALU_DEP_2) | instskip(NEXT) | instid1(VALU_DEP_2)
	v_add_co_u32 v6, vcc_lo, v12, v6
	v_add_co_ci_u32_e32 v7, vcc_lo, v13, v7, vcc_lo
	global_load_b64 v[6:7], v[6:7], off
	s_waitcnt vmcnt(0)
	v_cmpx_ne_u64_e64 s[38:39], v[6:7]
	s_cbranch_execz .LBB16_26
; %bb.20:                               ;   in Loop: Header=BB16_3 Depth=1
	v_cmp_lt_i64_e32 vcc_lo, -1, v[6:7]
	v_cmp_gt_i64_e64 s0, s[42:43], v[6:7]
	s_mov_b32 s46, 0
	s_delay_alu instid0(VALU_DEP_1) | instskip(NEXT) | instid1(SALU_CYCLE_1)
	s_and_b32 s47, vcc_lo, s0
	s_and_saveexec_b32 s0, s47
	s_cbranch_execz .LBB16_25
; %bb.21:                               ;   in Loop: Header=BB16_3 Depth=1
	s_and_not1_b32 vcc_lo, exec_lo, s48
	s_cbranch_vccnz .LBB16_23
; %bb.22:                               ;   in Loop: Header=BB16_3 Depth=1
	v_lshlrev_b64 v[12:13], 3, v[6:7]
	s_delay_alu instid0(VALU_DEP_1) | instskip(NEXT) | instid1(VALU_DEP_2)
	v_add_co_u32 v12, vcc_lo, s36, v12
	v_add_co_ci_u32_e32 v13, vcc_lo, s37, v13, vcc_lo
	global_load_b64 v[12:13], v[12:13], off
	s_branch .LBB16_24
.LBB16_23:                              ;   in Loop: Header=BB16_3 Depth=1
	v_mov_b32_e32 v12, 0
	v_mov_b32_e32 v13, 0x3ff00000
.LBB16_24:                              ;   in Loop: Header=BB16_3 Depth=1
	v_mul_lo_u32 v18, s13, v3
	v_mul_lo_u32 v19, s12, v15
	v_mad_u64_u32 v[16:17], null, s12, v3, 0
	v_mul_lo_u32 v22, s15, v8
	v_mul_lo_u32 v23, s14, v9
	;; [unrolled: 1-line block ×4, first 2 shown]
	v_mad_u64_u32 v[20:21], null, s16, v10, 0
	v_add3_u32 v17, v17, v19, v18
	v_mad_u64_u32 v[18:19], null, s14, v8, 0
	v_mul_lo_u32 v15, s20, v15
	s_mov_b32 s46, exec_lo
	s_delay_alu instid0(VALU_DEP_3) | instskip(SKIP_1) | instid1(VALU_DEP_4)
	v_lshlrev_b64 v[16:17], 3, v[16:17]
	v_add3_u32 v21, v21, v25, v24
	v_add3_u32 v19, v19, v23, v22
	s_delay_alu instid0(VALU_DEP_3) | instskip(NEXT) | instid1(VALU_DEP_4)
	v_add_co_u32 v22, vcc_lo, s10, v16
	v_add_co_ci_u32_e32 v23, vcc_lo, s11, v17, vcc_lo
	s_delay_alu instid0(VALU_DEP_3) | instskip(SKIP_2) | instid1(VALU_DEP_3)
	v_lshlrev_b64 v[18:19], 3, v[18:19]
	v_lshlrev_b64 v[16:17], 3, v[20:21]
	v_mad_u64_u32 v[20:21], null, s22, v6, 0
	v_add_co_u32 v18, vcc_lo, v22, v18
	s_delay_alu instid0(VALU_DEP_4) | instskip(SKIP_1) | instid1(VALU_DEP_3)
	v_add_co_ci_u32_e32 v19, vcc_lo, v23, v19, vcc_lo
	v_mul_lo_u32 v22, s21, v3
	v_add_co_u32 v16, vcc_lo, v18, v16
	s_delay_alu instid0(VALU_DEP_3)
	v_add_co_ci_u32_e32 v17, vcc_lo, v19, v17, vcc_lo
	v_mad_u64_u32 v[18:19], null, s20, v3, 0
	v_mul_lo_u32 v3, s23, v6
	global_load_b64 v[16:17], v[16:17], off
	v_mul_lo_u32 v23, s22, v7
	v_add3_u32 v19, v19, v15, v22
	v_mul_lo_u32 v22, s24, v9
	s_delay_alu instid0(VALU_DEP_3)
	v_add3_u32 v21, v21, v23, v3
	v_mul_lo_u32 v3, s27, v10
	s_waitcnt vmcnt(0)
	v_mul_f64 v[6:7], v[16:17], -v[12:13]
	v_mul_lo_u32 v17, s25, v8
	v_mad_u64_u32 v[12:13], null, s24, v8, 0
	v_lshlrev_b64 v[8:9], 3, v[18:19]
	v_mul_lo_u32 v18, s26, v11
	v_mad_u64_u32 v[15:16], null, s26, v10, 0
	v_lshlrev_b64 v[10:11], 3, v[20:21]
	v_add3_u32 v13, v13, v22, v17
	v_add_co_u32 v17, vcc_lo, s18, v8
	v_add_co_ci_u32_e32 v19, vcc_lo, s19, v9, vcc_lo
	s_delay_alu instid0(VALU_DEP_3) | instskip(SKIP_1) | instid1(VALU_DEP_4)
	v_lshlrev_b64 v[8:9], 3, v[12:13]
	v_add3_u32 v16, v16, v18, v3
	v_add_co_u32 v3, vcc_lo, v17, v10
	s_delay_alu instid0(VALU_DEP_4) | instskip(NEXT) | instid1(VALU_DEP_3)
	v_add_co_ci_u32_e32 v12, vcc_lo, v19, v11, vcc_lo
	v_lshlrev_b64 v[10:11], 3, v[15:16]
	s_delay_alu instid0(VALU_DEP_3) | instskip(NEXT) | instid1(VALU_DEP_3)
	v_add_co_u32 v3, vcc_lo, v3, v8
	v_add_co_ci_u32_e32 v9, vcc_lo, v12, v9, vcc_lo
	s_delay_alu instid0(VALU_DEP_2) | instskip(NEXT) | instid1(VALU_DEP_2)
	v_add_co_u32 v8, vcc_lo, v3, v10
	v_add_co_ci_u32_e32 v9, vcc_lo, v9, v11, vcc_lo
	global_store_b64 v[8:9], v[6:7], off
.LBB16_25:                              ;   in Loop: Header=BB16_3 Depth=1
	s_or_b32 exec_lo, exec_lo, s0
	s_mov_b32 s47, -1
	s_or_not1_b32 s0, s46, exec_lo
.LBB16_26:                              ;   in Loop: Header=BB16_3 Depth=1
	s_or_b32 exec_lo, exec_lo, s45
	s_delay_alu instid0(SALU_CYCLE_1) | instskip(SKIP_1) | instid1(SALU_CYCLE_1)
	s_and_not1_b32 s45, s53, exec_lo
	s_and_b32 s46, s47, exec_lo
	s_or_b32 s53, s45, s46
	s_and_saveexec_b32 s45, s0
	s_cbranch_execz .LBB16_2
; %bb.27:                               ;   in Loop: Header=BB16_3 Depth=1
	v_add_co_u32 v4, vcc_lo, v4, s50
	v_add_co_ci_u32_e32 v5, vcc_lo, 0, v5, vcc_lo
	v_add_co_u32 v0, s0, v0, 0
	s_delay_alu instid0(VALU_DEP_1) | instskip(NEXT) | instid1(VALU_DEP_3)
	v_add_co_ci_u32_e64 v1, s0, s52, v1, s0
	v_cmp_le_i64_e32 vcc_lo, s[2:3], v[4:5]
	s_and_not1_b32 s53, s53, exec_lo
	s_or_not1_b32 s44, vcc_lo, exec_lo
	s_branch .LBB16_2
.LBB16_28:
	s_or_b32 exec_lo, exec_lo, s49
	s_and_saveexec_b32 s0, s51
	s_delay_alu instid0(SALU_CYCLE_1)
	s_xor_b32 s0, exec_lo, s0
	s_cbranch_execnz .LBB16_30
.LBB16_29:
	s_nop 0
	s_sendmsg sendmsg(MSG_DEALLOC_VGPRS)
	s_endpgm
.LBB16_30:
	s_cbranch_execnz .LBB16_32
; %bb.31:
	; divergent unreachable
	s_nop 0
	s_sendmsg sendmsg(MSG_DEALLOC_VGPRS)
	s_endpgm
.LBB16_32:
	s_trap 2
	s_sendmsg_rtn_b32 s0, sendmsg(MSG_RTN_GET_DOORBELL)
	s_mov_b32 ttmp2, m0
	s_waitcnt lgkmcnt(0)
	s_and_b32 s0, s0, 0x3ff
	s_delay_alu instid0(SALU_CYCLE_1) | instskip(NEXT) | instid1(SALU_CYCLE_1)
	s_bitset1_b32 s0, 10
	s_mov_b32 m0, s0
	s_sendmsg sendmsg(MSG_INTERRUPT)
	s_mov_b32 m0, ttmp2
.LBB16_33:                              ; =>This Inner Loop Header: Depth=1
	s_sethalt 5
	s_branch .LBB16_33
	.section	.rodata,"a",@progbits
	.p2align	6, 0x0
	.amdhsa_kernel _ZN2at6native12_GLOBAL__N_136nll_loss2d_backward_no_reduce_kernelIdEEvlN5torch10headeronly6detail27GenericPackedTensorAccessorINS5_14TensorAccessorIN3c108ArrayRefIlEElLm2ENS4_16DefaultPtrTraitsElEENS_6detail16IndexBoundsCheckILm3ElEElLm3ESB_lEENS6_INS7_ISA_T_Lm2ESB_lEESF_SH_Lm3ESB_lEENS6_INS7_ISA_SH_Lm3ESB_lEENSE_ILm4ElEESH_Lm4ESB_lEEPKSH_l
		.amdhsa_group_segment_fixed_size 0
		.amdhsa_private_segment_fixed_size 0
		.amdhsa_kernarg_size 464
		.amdhsa_user_sgpr_count 15
		.amdhsa_user_sgpr_dispatch_ptr 0
		.amdhsa_user_sgpr_queue_ptr 0
		.amdhsa_user_sgpr_kernarg_segment_ptr 1
		.amdhsa_user_sgpr_dispatch_id 0
		.amdhsa_user_sgpr_private_segment_size 0
		.amdhsa_wavefront_size32 1
		.amdhsa_uses_dynamic_stack 0
		.amdhsa_enable_private_segment 0
		.amdhsa_system_sgpr_workgroup_id_x 1
		.amdhsa_system_sgpr_workgroup_id_y 0
		.amdhsa_system_sgpr_workgroup_id_z 0
		.amdhsa_system_sgpr_workgroup_info 0
		.amdhsa_system_vgpr_workitem_id 0
		.amdhsa_next_free_vgpr 26
		.amdhsa_next_free_sgpr 56
		.amdhsa_reserve_vcc 1
		.amdhsa_float_round_mode_32 0
		.amdhsa_float_round_mode_16_64 0
		.amdhsa_float_denorm_mode_32 3
		.amdhsa_float_denorm_mode_16_64 3
		.amdhsa_dx10_clamp 1
		.amdhsa_ieee_mode 1
		.amdhsa_fp16_overflow 0
		.amdhsa_workgroup_processor_mode 1
		.amdhsa_memory_ordered 1
		.amdhsa_forward_progress 0
		.amdhsa_shared_vgpr_count 0
		.amdhsa_exception_fp_ieee_invalid_op 0
		.amdhsa_exception_fp_denorm_src 0
		.amdhsa_exception_fp_ieee_div_zero 0
		.amdhsa_exception_fp_ieee_overflow 0
		.amdhsa_exception_fp_ieee_underflow 0
		.amdhsa_exception_fp_ieee_inexact 0
		.amdhsa_exception_int_div_zero 0
	.end_amdhsa_kernel
	.section	.text._ZN2at6native12_GLOBAL__N_136nll_loss2d_backward_no_reduce_kernelIdEEvlN5torch10headeronly6detail27GenericPackedTensorAccessorINS5_14TensorAccessorIN3c108ArrayRefIlEElLm2ENS4_16DefaultPtrTraitsElEENS_6detail16IndexBoundsCheckILm3ElEElLm3ESB_lEENS6_INS7_ISA_T_Lm2ESB_lEESF_SH_Lm3ESB_lEENS6_INS7_ISA_SH_Lm3ESB_lEENSE_ILm4ElEESH_Lm4ESB_lEEPKSH_l,"axG",@progbits,_ZN2at6native12_GLOBAL__N_136nll_loss2d_backward_no_reduce_kernelIdEEvlN5torch10headeronly6detail27GenericPackedTensorAccessorINS5_14TensorAccessorIN3c108ArrayRefIlEElLm2ENS4_16DefaultPtrTraitsElEENS_6detail16IndexBoundsCheckILm3ElEElLm3ESB_lEENS6_INS7_ISA_T_Lm2ESB_lEESF_SH_Lm3ESB_lEENS6_INS7_ISA_SH_Lm3ESB_lEENSE_ILm4ElEESH_Lm4ESB_lEEPKSH_l,comdat
.Lfunc_end16:
	.size	_ZN2at6native12_GLOBAL__N_136nll_loss2d_backward_no_reduce_kernelIdEEvlN5torch10headeronly6detail27GenericPackedTensorAccessorINS5_14TensorAccessorIN3c108ArrayRefIlEElLm2ENS4_16DefaultPtrTraitsElEENS_6detail16IndexBoundsCheckILm3ElEElLm3ESB_lEENS6_INS7_ISA_T_Lm2ESB_lEESF_SH_Lm3ESB_lEENS6_INS7_ISA_SH_Lm3ESB_lEENSE_ILm4ElEESH_Lm4ESB_lEEPKSH_l, .Lfunc_end16-_ZN2at6native12_GLOBAL__N_136nll_loss2d_backward_no_reduce_kernelIdEEvlN5torch10headeronly6detail27GenericPackedTensorAccessorINS5_14TensorAccessorIN3c108ArrayRefIlEElLm2ENS4_16DefaultPtrTraitsElEENS_6detail16IndexBoundsCheckILm3ElEElLm3ESB_lEENS6_INS7_ISA_T_Lm2ESB_lEESF_SH_Lm3ESB_lEENS6_INS7_ISA_SH_Lm3ESB_lEENSE_ILm4ElEESH_Lm4ESB_lEEPKSH_l
                                        ; -- End function
	.section	.AMDGPU.csdata,"",@progbits
; Kernel info:
; codeLenInByte = 5208
; NumSgprs: 58
; NumVgprs: 26
; ScratchSize: 0
; MemoryBound: 0
; FloatMode: 240
; IeeeMode: 1
; LDSByteSize: 0 bytes/workgroup (compile time only)
; SGPRBlocks: 7
; VGPRBlocks: 3
; NumSGPRsForWavesPerEU: 58
; NumVGPRsForWavesPerEU: 26
; Occupancy: 16
; WaveLimiterHint : 1
; COMPUTE_PGM_RSRC2:SCRATCH_EN: 0
; COMPUTE_PGM_RSRC2:USER_SGPR: 15
; COMPUTE_PGM_RSRC2:TRAP_HANDLER: 0
; COMPUTE_PGM_RSRC2:TGID_X_EN: 1
; COMPUTE_PGM_RSRC2:TGID_Y_EN: 0
; COMPUTE_PGM_RSRC2:TGID_Z_EN: 0
; COMPUTE_PGM_RSRC2:TIDIG_COMP_CNT: 0
	.section	.text._ZN2at6native12_GLOBAL__N_136nll_loss2d_backward_no_reduce_kernelIfEEvlN5torch10headeronly6detail27GenericPackedTensorAccessorINS5_14TensorAccessorIN3c108ArrayRefIlEElLm2ENS4_16DefaultPtrTraitsElEENS_6detail16IndexBoundsCheckILm3ElEElLm3ESB_lEENS6_INS7_ISA_T_Lm2ESB_lEESF_SH_Lm3ESB_lEENS6_INS7_ISA_SH_Lm3ESB_lEENSE_ILm4ElEESH_Lm4ESB_lEEPKSH_l,"axG",@progbits,_ZN2at6native12_GLOBAL__N_136nll_loss2d_backward_no_reduce_kernelIfEEvlN5torch10headeronly6detail27GenericPackedTensorAccessorINS5_14TensorAccessorIN3c108ArrayRefIlEElLm2ENS4_16DefaultPtrTraitsElEENS_6detail16IndexBoundsCheckILm3ElEElLm3ESB_lEENS6_INS7_ISA_T_Lm2ESB_lEESF_SH_Lm3ESB_lEENS6_INS7_ISA_SH_Lm3ESB_lEENSE_ILm4ElEESH_Lm4ESB_lEEPKSH_l,comdat
	.globl	_ZN2at6native12_GLOBAL__N_136nll_loss2d_backward_no_reduce_kernelIfEEvlN5torch10headeronly6detail27GenericPackedTensorAccessorINS5_14TensorAccessorIN3c108ArrayRefIlEElLm2ENS4_16DefaultPtrTraitsElEENS_6detail16IndexBoundsCheckILm3ElEElLm3ESB_lEENS6_INS7_ISA_T_Lm2ESB_lEESF_SH_Lm3ESB_lEENS6_INS7_ISA_SH_Lm3ESB_lEENSE_ILm4ElEESH_Lm4ESB_lEEPKSH_l ; -- Begin function _ZN2at6native12_GLOBAL__N_136nll_loss2d_backward_no_reduce_kernelIfEEvlN5torch10headeronly6detail27GenericPackedTensorAccessorINS5_14TensorAccessorIN3c108ArrayRefIlEElLm2ENS4_16DefaultPtrTraitsElEENS_6detail16IndexBoundsCheckILm3ElEElLm3ESB_lEENS6_INS7_ISA_T_Lm2ESB_lEESF_SH_Lm3ESB_lEENS6_INS7_ISA_SH_Lm3ESB_lEENSE_ILm4ElEESH_Lm4ESB_lEEPKSH_l
	.p2align	8
	.type	_ZN2at6native12_GLOBAL__N_136nll_loss2d_backward_no_reduce_kernelIfEEvlN5torch10headeronly6detail27GenericPackedTensorAccessorINS5_14TensorAccessorIN3c108ArrayRefIlEElLm2ENS4_16DefaultPtrTraitsElEENS_6detail16IndexBoundsCheckILm3ElEElLm3ESB_lEENS6_INS7_ISA_T_Lm2ESB_lEESF_SH_Lm3ESB_lEENS6_INS7_ISA_SH_Lm3ESB_lEENSE_ILm4ElEESH_Lm4ESB_lEEPKSH_l,@function
_ZN2at6native12_GLOBAL__N_136nll_loss2d_backward_no_reduce_kernelIfEEvlN5torch10headeronly6detail27GenericPackedTensorAccessorINS5_14TensorAccessorIN3c108ArrayRefIlEElLm2ENS4_16DefaultPtrTraitsElEENS_6detail16IndexBoundsCheckILm3ElEElLm3ESB_lEENS6_INS7_ISA_T_Lm2ESB_lEESF_SH_Lm3ESB_lEENS6_INS7_ISA_SH_Lm3ESB_lEENSE_ILm4ElEESH_Lm4ESB_lEEPKSH_l: ; @_ZN2at6native12_GLOBAL__N_136nll_loss2d_backward_no_reduce_kernelIfEEvlN5torch10headeronly6detail27GenericPackedTensorAccessorINS5_14TensorAccessorIN3c108ArrayRefIlEElLm2ENS4_16DefaultPtrTraitsElEENS_6detail16IndexBoundsCheckILm3ElEElLm3ESB_lEENS6_INS7_ISA_T_Lm2ESB_lEESF_SH_Lm3ESB_lEENS6_INS7_ISA_SH_Lm3ESB_lEENSE_ILm4ElEESH_Lm4ESB_lEEPKSH_l
; %bb.0:
	s_clause 0x1
	s_load_b32 s4, s[0:1], 0xdc
	s_load_b64 s[2:3], s[0:1], 0x0
	v_mov_b32_e32 v2, 0
	s_add_u32 s12, s0, 0xd0
	s_addc_u32 s13, s1, 0
	s_delay_alu instid0(VALU_DEP_1) | instskip(SKIP_3) | instid1(VALU_DEP_1)
	v_mov_b32_e32 v1, v2
	s_waitcnt lgkmcnt(0)
	s_and_b32 s44, s4, 0xffff
	s_mov_b32 s4, exec_lo
	v_mad_u64_u32 v[4:5], null, s44, s15, v[0:1]
	s_delay_alu instid0(VALU_DEP_1)
	v_cmpx_gt_i64_e64 s[2:3], v[4:5]
	s_cbranch_execz .LBB17_29
; %bb.1:
	s_clause 0x4
	s_load_b128 s[28:31], s[0:1], 0x10
	s_load_b128 s[36:39], s[0:1], 0xc0
	s_load_b64 s[34:35], s[0:1], 0x8
	s_load_b64 s[40:41], s[0:1], 0x20
	s_load_b256 s[4:11], s[0:1], 0x28
	s_load_b32 s45, s[12:13], 0x0
	s_clause 0x2
	s_load_b64 s[42:43], s[0:1], 0x88
	s_load_b256 s[12:19], s[0:1], 0x60
	s_load_b256 s[20:27], s[0:1], 0xa0
	s_mov_b32 s49, 0
                                        ; implicit-def: $sgpr51
                                        ; implicit-def: $sgpr53
	s_waitcnt lgkmcnt(0)
	v_cvt_f32_u32_e32 v0, s28
	s_mul_i32 s0, s30, s29
	s_mul_hi_u32 s1, s30, s28
	s_mul_i32 s33, s31, s28
	s_add_i32 s0, s1, s0
	v_rcp_iflag_f32_e32 v0, v0
	v_mov_b32_e32 v3, v4
	s_add_i32 s1, s0, s33
	s_cmp_lg_u64 s[36:37], 0
	s_mul_i32 s50, s45, s44
	s_mul_i32 s33, s30, s28
	s_cselect_b32 s48, -1, 0
	s_mov_b32 s52, s50
	s_waitcnt_depctr 0xfff
	v_mul_f32_e32 v0, 0x4f7ffffe, v0
	s_delay_alu instid0(VALU_DEP_1)
	v_cvt_u32_f32_e32 v14, v0
	v_dual_mov_b32 v0, v2 :: v_dual_mov_b32 v1, v3
	s_branch .LBB17_3
.LBB17_2:                               ;   in Loop: Header=BB17_3 Depth=1
	s_or_b32 exec_lo, exec_lo, s45
	s_delay_alu instid0(SALU_CYCLE_1) | instskip(NEXT) | instid1(SALU_CYCLE_1)
	s_and_b32 s0, exec_lo, s44
	s_or_b32 s49, s0, s49
	s_and_not1_b32 s0, s51, exec_lo
	s_and_b32 s44, s53, exec_lo
	s_delay_alu instid0(SALU_CYCLE_1)
	s_or_b32 s51, s0, s44
	s_and_not1_b32 exec_lo, exec_lo, s49
	s_cbranch_execz .LBB17_28
.LBB17_3:                               ; =>This Inner Loop Header: Depth=1
	s_delay_alu instid0(VALU_DEP_1) | instskip(SKIP_2) | instid1(VALU_DEP_2)
	v_ashrrev_i32_e32 v15, 31, v1
	v_mov_b32_e32 v16, v1
                                        ; implicit-def: $vgpr6_vgpr7
	s_mov_b32 s0, exec_lo
	v_or_b32_e32 v3, s29, v15
	s_delay_alu instid0(VALU_DEP_1)
	v_cmpx_ne_u64_e32 0, v[2:3]
	s_xor_b32 s54, exec_lo, s0
	s_cbranch_execz .LBB17_5
; %bb.4:                                ;   in Loop: Header=BB17_3 Depth=1
	s_ashr_i32 s44, s29, 31
	s_delay_alu instid0(SALU_CYCLE_1) | instskip(SKIP_2) | instid1(SALU_CYCLE_1)
	s_add_u32 s46, s28, s44
	s_mov_b32 s45, s44
	s_addc_u32 s47, s29, s44
	s_xor_b64 s[46:47], s[46:47], s[44:45]
	s_delay_alu instid0(SALU_CYCLE_1) | instskip(SKIP_3) | instid1(VALU_DEP_1)
	v_cvt_f32_u32_e32 v3, s46
	v_cvt_f32_u32_e32 v6, s47
	s_sub_u32 s0, 0, s46
	s_subb_u32 s45, 0, s47
	v_fmac_f32_e32 v3, 0x4f800000, v6
	s_delay_alu instid0(VALU_DEP_1) | instskip(SKIP_2) | instid1(VALU_DEP_1)
	v_rcp_f32_e32 v3, v3
	s_waitcnt_depctr 0xfff
	v_mul_f32_e32 v3, 0x5f7ffffc, v3
	v_mul_f32_e32 v6, 0x2f800000, v3
	s_delay_alu instid0(VALU_DEP_1) | instskip(NEXT) | instid1(VALU_DEP_1)
	v_trunc_f32_e32 v6, v6
	v_fmac_f32_e32 v3, 0xcf800000, v6
	v_cvt_u32_f32_e32 v6, v6
	s_delay_alu instid0(VALU_DEP_2) | instskip(NEXT) | instid1(VALU_DEP_2)
	v_cvt_u32_f32_e32 v3, v3
	v_mul_lo_u32 v7, s0, v6
	s_delay_alu instid0(VALU_DEP_2) | instskip(SKIP_1) | instid1(VALU_DEP_2)
	v_mul_hi_u32 v8, s0, v3
	v_mul_lo_u32 v9, s45, v3
	v_add_nc_u32_e32 v7, v8, v7
	v_mul_lo_u32 v8, s0, v3
	s_delay_alu instid0(VALU_DEP_2) | instskip(NEXT) | instid1(VALU_DEP_2)
	v_add_nc_u32_e32 v7, v7, v9
	v_mul_hi_u32 v9, v3, v8
	s_delay_alu instid0(VALU_DEP_2)
	v_mul_lo_u32 v10, v3, v7
	v_mul_hi_u32 v11, v3, v7
	v_mul_hi_u32 v12, v6, v8
	v_mul_lo_u32 v8, v6, v8
	v_mul_hi_u32 v13, v6, v7
	v_mul_lo_u32 v7, v6, v7
	v_add_co_u32 v9, vcc_lo, v9, v10
	v_add_co_ci_u32_e32 v10, vcc_lo, 0, v11, vcc_lo
	s_delay_alu instid0(VALU_DEP_2) | instskip(NEXT) | instid1(VALU_DEP_2)
	v_add_co_u32 v8, vcc_lo, v9, v8
	v_add_co_ci_u32_e32 v8, vcc_lo, v10, v12, vcc_lo
	v_add_co_ci_u32_e32 v9, vcc_lo, 0, v13, vcc_lo
	v_ashrrev_i32_e32 v12, 31, v15
	s_delay_alu instid0(VALU_DEP_3) | instskip(NEXT) | instid1(VALU_DEP_3)
	v_add_co_u32 v7, vcc_lo, v8, v7
	v_add_co_ci_u32_e32 v8, vcc_lo, 0, v9, vcc_lo
	s_delay_alu instid0(VALU_DEP_2) | instskip(NEXT) | instid1(VALU_DEP_2)
	v_add_co_u32 v3, vcc_lo, v3, v7
	v_add_co_ci_u32_e32 v6, vcc_lo, v6, v8, vcc_lo
	s_delay_alu instid0(VALU_DEP_2) | instskip(SKIP_1) | instid1(VALU_DEP_3)
	v_mul_hi_u32 v7, s0, v3
	v_mul_lo_u32 v9, s45, v3
	v_mul_lo_u32 v8, s0, v6
	s_delay_alu instid0(VALU_DEP_1) | instskip(SKIP_1) | instid1(VALU_DEP_2)
	v_add_nc_u32_e32 v7, v7, v8
	v_mul_lo_u32 v8, s0, v3
	v_add_nc_u32_e32 v7, v7, v9
	s_delay_alu instid0(VALU_DEP_2) | instskip(NEXT) | instid1(VALU_DEP_2)
	v_mul_hi_u32 v9, v3, v8
	v_mul_lo_u32 v10, v3, v7
	v_mul_hi_u32 v11, v3, v7
	v_mul_hi_u32 v13, v6, v8
	v_mul_lo_u32 v8, v6, v8
	v_mul_hi_u32 v17, v6, v7
	v_mul_lo_u32 v7, v6, v7
	v_add_co_u32 v9, vcc_lo, v9, v10
	v_add_co_ci_u32_e32 v10, vcc_lo, 0, v11, vcc_lo
	s_delay_alu instid0(VALU_DEP_2) | instskip(NEXT) | instid1(VALU_DEP_2)
	v_add_co_u32 v8, vcc_lo, v9, v8
	v_add_co_ci_u32_e32 v8, vcc_lo, v10, v13, vcc_lo
	v_add_co_ci_u32_e32 v9, vcc_lo, 0, v17, vcc_lo
	v_add_co_u32 v10, vcc_lo, v16, v12
	v_add_co_ci_u32_e32 v11, vcc_lo, v15, v12, vcc_lo
	s_delay_alu instid0(VALU_DEP_4) | instskip(NEXT) | instid1(VALU_DEP_4)
	v_add_co_u32 v7, vcc_lo, v8, v7
	v_add_co_ci_u32_e32 v8, vcc_lo, 0, v9, vcc_lo
	s_delay_alu instid0(VALU_DEP_4) | instskip(NEXT) | instid1(VALU_DEP_3)
	v_xor_b32_e32 v13, v10, v12
	v_add_co_u32 v3, vcc_lo, v3, v7
	s_delay_alu instid0(VALU_DEP_3) | instskip(SKIP_1) | instid1(VALU_DEP_3)
	v_add_co_ci_u32_e32 v17, vcc_lo, v6, v8, vcc_lo
	v_xor_b32_e32 v18, v11, v12
	v_mul_hi_u32 v19, v13, v3
	s_delay_alu instid0(VALU_DEP_3) | instskip(NEXT) | instid1(VALU_DEP_3)
	v_mad_u64_u32 v[6:7], null, v13, v17, 0
	v_mad_u64_u32 v[8:9], null, v18, v3, 0
	;; [unrolled: 1-line block ×3, first 2 shown]
	s_delay_alu instid0(VALU_DEP_3) | instskip(NEXT) | instid1(VALU_DEP_4)
	v_add_co_u32 v3, vcc_lo, v19, v6
	v_add_co_ci_u32_e32 v6, vcc_lo, 0, v7, vcc_lo
	s_delay_alu instid0(VALU_DEP_2) | instskip(NEXT) | instid1(VALU_DEP_2)
	v_add_co_u32 v3, vcc_lo, v3, v8
	v_add_co_ci_u32_e32 v3, vcc_lo, v6, v9, vcc_lo
	v_add_co_ci_u32_e32 v6, vcc_lo, 0, v11, vcc_lo
	s_delay_alu instid0(VALU_DEP_2) | instskip(NEXT) | instid1(VALU_DEP_2)
	v_add_co_u32 v3, vcc_lo, v3, v10
	v_add_co_ci_u32_e32 v8, vcc_lo, 0, v6, vcc_lo
	s_delay_alu instid0(VALU_DEP_2) | instskip(SKIP_1) | instid1(VALU_DEP_3)
	v_mul_lo_u32 v9, s47, v3
	v_mad_u64_u32 v[6:7], null, s46, v3, 0
	v_mul_lo_u32 v10, s46, v8
	s_delay_alu instid0(VALU_DEP_2) | instskip(NEXT) | instid1(VALU_DEP_2)
	v_sub_co_u32 v6, vcc_lo, v13, v6
	v_add3_u32 v7, v7, v10, v9
	s_delay_alu instid0(VALU_DEP_1) | instskip(NEXT) | instid1(VALU_DEP_1)
	v_sub_nc_u32_e32 v9, v18, v7
	v_subrev_co_ci_u32_e64 v9, s0, s47, v9, vcc_lo
	v_add_co_u32 v10, s0, v3, 2
	s_delay_alu instid0(VALU_DEP_1) | instskip(SKIP_3) | instid1(VALU_DEP_3)
	v_add_co_ci_u32_e64 v11, s0, 0, v8, s0
	v_sub_co_u32 v13, s0, v6, s46
	v_sub_co_ci_u32_e32 v7, vcc_lo, v18, v7, vcc_lo
	v_subrev_co_ci_u32_e64 v9, s0, 0, v9, s0
	v_cmp_le_u32_e32 vcc_lo, s46, v13
	s_delay_alu instid0(VALU_DEP_3) | instskip(SKIP_1) | instid1(VALU_DEP_4)
	v_cmp_eq_u32_e64 s0, s47, v7
	v_cndmask_b32_e64 v13, 0, -1, vcc_lo
	v_cmp_le_u32_e32 vcc_lo, s47, v9
	v_cndmask_b32_e64 v17, 0, -1, vcc_lo
	v_cmp_le_u32_e32 vcc_lo, s46, v6
	;; [unrolled: 2-line block ×3, first 2 shown]
	v_cndmask_b32_e64 v18, 0, -1, vcc_lo
	v_cmp_eq_u32_e32 vcc_lo, s47, v9
	s_delay_alu instid0(VALU_DEP_2) | instskip(SKIP_3) | instid1(VALU_DEP_3)
	v_cndmask_b32_e64 v6, v18, v6, s0
	v_cndmask_b32_e32 v9, v17, v13, vcc_lo
	v_add_co_u32 v13, vcc_lo, v3, 1
	v_add_co_ci_u32_e32 v17, vcc_lo, 0, v8, vcc_lo
	v_cmp_ne_u32_e32 vcc_lo, 0, v9
	s_delay_alu instid0(VALU_DEP_2) | instskip(NEXT) | instid1(VALU_DEP_4)
	v_cndmask_b32_e32 v7, v17, v11, vcc_lo
	v_cndmask_b32_e32 v9, v13, v10, vcc_lo
	v_cmp_ne_u32_e32 vcc_lo, 0, v6
	v_xor_b32_e32 v10, s44, v12
	s_delay_alu instid0(VALU_DEP_3) | instskip(NEXT) | instid1(VALU_DEP_1)
	v_dual_cndmask_b32 v3, v3, v9 :: v_dual_cndmask_b32 v6, v8, v7
	v_xor_b32_e32 v3, v3, v10
	s_delay_alu instid0(VALU_DEP_2) | instskip(NEXT) | instid1(VALU_DEP_2)
	v_xor_b32_e32 v7, v6, v10
	v_sub_co_u32 v6, vcc_lo, v3, v10
	s_delay_alu instid0(VALU_DEP_2)
	v_sub_co_ci_u32_e32 v7, vcc_lo, v7, v10, vcc_lo
.LBB17_5:                               ;   in Loop: Header=BB17_3 Depth=1
	s_and_not1_saveexec_b32 s0, s54
	s_cbranch_execz .LBB17_7
; %bb.6:                                ;   in Loop: Header=BB17_3 Depth=1
	s_sub_i32 s44, 0, s28
	s_delay_alu instid0(SALU_CYCLE_1) | instskip(NEXT) | instid1(VALU_DEP_1)
	v_mul_lo_u32 v3, s44, v14
	v_mul_hi_u32 v3, v14, v3
	s_delay_alu instid0(VALU_DEP_1) | instskip(NEXT) | instid1(VALU_DEP_1)
	v_add_nc_u32_e32 v3, v14, v3
	v_mul_hi_u32 v3, v16, v3
	s_delay_alu instid0(VALU_DEP_1) | instskip(NEXT) | instid1(VALU_DEP_1)
	v_mul_lo_u32 v6, v3, s28
	v_sub_nc_u32_e32 v6, v16, v6
	s_delay_alu instid0(VALU_DEP_1) | instskip(SKIP_1) | instid1(VALU_DEP_2)
	v_subrev_nc_u32_e32 v8, s28, v6
	v_cmp_le_u32_e32 vcc_lo, s28, v6
	v_dual_cndmask_b32 v6, v6, v8 :: v_dual_add_nc_u32 v7, 1, v3
	s_delay_alu instid0(VALU_DEP_1) | instskip(NEXT) | instid1(VALU_DEP_2)
	v_cndmask_b32_e32 v3, v3, v7, vcc_lo
	v_cmp_le_u32_e32 vcc_lo, s28, v6
	s_delay_alu instid0(VALU_DEP_2) | instskip(NEXT) | instid1(VALU_DEP_1)
	v_add_nc_u32_e32 v7, 1, v3
	v_dual_cndmask_b32 v6, v3, v7 :: v_dual_mov_b32 v7, v2
.LBB17_7:                               ;   in Loop: Header=BB17_3 Depth=1
	s_or_b32 exec_lo, exec_lo, s0
	s_delay_alu instid0(VALU_DEP_1) | instskip(SKIP_1) | instid1(VALU_DEP_1)
	v_or_b32_e32 v3, s31, v7
                                        ; implicit-def: $vgpr8_vgpr9
	s_mov_b32 s0, exec_lo
	v_cmpx_ne_u64_e32 0, v[2:3]
	s_xor_b32 s46, exec_lo, s0
	s_cbranch_execz .LBB17_9
; %bb.8:                                ;   in Loop: Header=BB17_3 Depth=1
	s_ashr_i32 s44, s31, 31
	s_delay_alu instid0(SALU_CYCLE_1) | instskip(SKIP_2) | instid1(SALU_CYCLE_1)
	s_add_u32 s54, s30, s44
	s_mov_b32 s45, s44
	s_addc_u32 s55, s31, s44
	s_xor_b64 s[44:45], s[54:55], s[44:45]
	s_delay_alu instid0(SALU_CYCLE_1) | instskip(SKIP_3) | instid1(VALU_DEP_1)
	v_cvt_f32_u32_e32 v3, s44
	v_cvt_f32_u32_e32 v8, s45
	s_sub_u32 s0, 0, s44
	s_subb_u32 s47, 0, s45
	v_fmac_f32_e32 v3, 0x4f800000, v8
	s_delay_alu instid0(VALU_DEP_1) | instskip(SKIP_2) | instid1(VALU_DEP_1)
	v_rcp_f32_e32 v3, v3
	s_waitcnt_depctr 0xfff
	v_mul_f32_e32 v3, 0x5f7ffffc, v3
	v_mul_f32_e32 v8, 0x2f800000, v3
	s_delay_alu instid0(VALU_DEP_1) | instskip(NEXT) | instid1(VALU_DEP_1)
	v_trunc_f32_e32 v8, v8
	v_fmac_f32_e32 v3, 0xcf800000, v8
	v_cvt_u32_f32_e32 v8, v8
	s_delay_alu instid0(VALU_DEP_2) | instskip(NEXT) | instid1(VALU_DEP_2)
	v_cvt_u32_f32_e32 v3, v3
	v_mul_lo_u32 v9, s0, v8
	s_delay_alu instid0(VALU_DEP_2) | instskip(SKIP_1) | instid1(VALU_DEP_2)
	v_mul_hi_u32 v10, s0, v3
	v_mul_lo_u32 v11, s47, v3
	v_add_nc_u32_e32 v9, v10, v9
	v_mul_lo_u32 v10, s0, v3
	s_delay_alu instid0(VALU_DEP_2) | instskip(NEXT) | instid1(VALU_DEP_2)
	v_add_nc_u32_e32 v9, v9, v11
	v_mul_hi_u32 v11, v3, v10
	s_delay_alu instid0(VALU_DEP_2)
	v_mul_lo_u32 v12, v3, v9
	v_mul_hi_u32 v13, v3, v9
	v_mul_hi_u32 v17, v8, v10
	v_mul_lo_u32 v10, v8, v10
	v_mul_hi_u32 v18, v8, v9
	v_mul_lo_u32 v9, v8, v9
	v_add_co_u32 v11, vcc_lo, v11, v12
	v_add_co_ci_u32_e32 v12, vcc_lo, 0, v13, vcc_lo
	s_delay_alu instid0(VALU_DEP_2) | instskip(NEXT) | instid1(VALU_DEP_2)
	v_add_co_u32 v10, vcc_lo, v11, v10
	v_add_co_ci_u32_e32 v10, vcc_lo, v12, v17, vcc_lo
	v_add_co_ci_u32_e32 v11, vcc_lo, 0, v18, vcc_lo
	v_ashrrev_i32_e32 v17, 31, v7
	s_delay_alu instid0(VALU_DEP_3) | instskip(NEXT) | instid1(VALU_DEP_3)
	v_add_co_u32 v9, vcc_lo, v10, v9
	v_add_co_ci_u32_e32 v10, vcc_lo, 0, v11, vcc_lo
	s_delay_alu instid0(VALU_DEP_2) | instskip(NEXT) | instid1(VALU_DEP_2)
	v_add_co_u32 v3, vcc_lo, v3, v9
	v_add_co_ci_u32_e32 v8, vcc_lo, v8, v10, vcc_lo
	s_delay_alu instid0(VALU_DEP_2) | instskip(SKIP_1) | instid1(VALU_DEP_3)
	v_mul_hi_u32 v9, s0, v3
	v_mul_lo_u32 v11, s47, v3
	v_mul_lo_u32 v10, s0, v8
	s_delay_alu instid0(VALU_DEP_1) | instskip(SKIP_1) | instid1(VALU_DEP_2)
	v_add_nc_u32_e32 v9, v9, v10
	v_mul_lo_u32 v10, s0, v3
	v_add_nc_u32_e32 v9, v9, v11
	s_delay_alu instid0(VALU_DEP_2) | instskip(NEXT) | instid1(VALU_DEP_2)
	v_mul_hi_u32 v11, v3, v10
	v_mul_lo_u32 v12, v3, v9
	v_mul_hi_u32 v13, v3, v9
	v_mul_hi_u32 v18, v8, v10
	v_mul_lo_u32 v10, v8, v10
	v_mul_hi_u32 v19, v8, v9
	v_mul_lo_u32 v9, v8, v9
	v_add_co_u32 v11, vcc_lo, v11, v12
	v_add_co_ci_u32_e32 v12, vcc_lo, 0, v13, vcc_lo
	s_delay_alu instid0(VALU_DEP_2) | instskip(NEXT) | instid1(VALU_DEP_2)
	v_add_co_u32 v10, vcc_lo, v11, v10
	v_add_co_ci_u32_e32 v10, vcc_lo, v12, v18, vcc_lo
	v_add_co_ci_u32_e32 v11, vcc_lo, 0, v19, vcc_lo
	v_add_co_u32 v12, vcc_lo, v6, v17
	v_add_co_ci_u32_e32 v13, vcc_lo, v7, v17, vcc_lo
	s_delay_alu instid0(VALU_DEP_4) | instskip(NEXT) | instid1(VALU_DEP_4)
	v_add_co_u32 v9, vcc_lo, v10, v9
	v_add_co_ci_u32_e32 v10, vcc_lo, 0, v11, vcc_lo
	s_delay_alu instid0(VALU_DEP_4) | instskip(NEXT) | instid1(VALU_DEP_3)
	v_xor_b32_e32 v18, v12, v17
	v_add_co_u32 v3, vcc_lo, v3, v9
	s_delay_alu instid0(VALU_DEP_3) | instskip(SKIP_1) | instid1(VALU_DEP_3)
	v_add_co_ci_u32_e32 v19, vcc_lo, v8, v10, vcc_lo
	v_xor_b32_e32 v20, v13, v17
	v_mul_hi_u32 v21, v18, v3
	s_delay_alu instid0(VALU_DEP_3) | instskip(NEXT) | instid1(VALU_DEP_3)
	v_mad_u64_u32 v[8:9], null, v18, v19, 0
	v_mad_u64_u32 v[10:11], null, v20, v3, 0
	;; [unrolled: 1-line block ×3, first 2 shown]
	s_delay_alu instid0(VALU_DEP_3) | instskip(NEXT) | instid1(VALU_DEP_4)
	v_add_co_u32 v3, vcc_lo, v21, v8
	v_add_co_ci_u32_e32 v8, vcc_lo, 0, v9, vcc_lo
	s_delay_alu instid0(VALU_DEP_2) | instskip(NEXT) | instid1(VALU_DEP_2)
	v_add_co_u32 v3, vcc_lo, v3, v10
	v_add_co_ci_u32_e32 v3, vcc_lo, v8, v11, vcc_lo
	v_add_co_ci_u32_e32 v8, vcc_lo, 0, v13, vcc_lo
	s_delay_alu instid0(VALU_DEP_2) | instskip(NEXT) | instid1(VALU_DEP_2)
	v_add_co_u32 v3, vcc_lo, v3, v12
	v_add_co_ci_u32_e32 v10, vcc_lo, 0, v8, vcc_lo
	s_delay_alu instid0(VALU_DEP_2) | instskip(SKIP_1) | instid1(VALU_DEP_3)
	v_mul_lo_u32 v11, s45, v3
	v_mad_u64_u32 v[8:9], null, s44, v3, 0
	v_mul_lo_u32 v3, s44, v10
	s_delay_alu instid0(VALU_DEP_2) | instskip(NEXT) | instid1(VALU_DEP_2)
	v_sub_co_u32 v8, vcc_lo, v18, v8
	v_add3_u32 v3, v9, v3, v11
	s_delay_alu instid0(VALU_DEP_1) | instskip(NEXT) | instid1(VALU_DEP_1)
	v_sub_nc_u32_e32 v9, v20, v3
	v_subrev_co_ci_u32_e64 v9, s0, s45, v9, vcc_lo
	v_sub_co_ci_u32_e32 v3, vcc_lo, v20, v3, vcc_lo
	v_sub_co_u32 v10, vcc_lo, v8, s44
	s_delay_alu instid0(VALU_DEP_1) | instskip(SKIP_3) | instid1(VALU_DEP_3)
	v_subrev_co_ci_u32_e64 v11, s0, 0, v9, vcc_lo
	v_cmp_le_u32_e64 s0, s44, v8
	v_subrev_co_ci_u32_e32 v9, vcc_lo, s45, v9, vcc_lo
	v_cmp_le_u32_e32 vcc_lo, s45, v3
	v_cndmask_b32_e64 v12, 0, -1, s0
	v_cmp_le_u32_e64 s0, s44, v10
	v_cndmask_b32_e64 v19, 0, -1, vcc_lo
	v_cmp_eq_u32_e32 vcc_lo, s45, v11
	s_delay_alu instid0(VALU_DEP_3) | instskip(SKIP_1) | instid1(VALU_DEP_1)
	v_cndmask_b32_e64 v13, 0, -1, s0
	v_cmp_le_u32_e64 s0, s45, v11
	v_cndmask_b32_e64 v18, 0, -1, s0
	v_cmp_eq_u32_e64 s0, s45, v3
	s_delay_alu instid0(VALU_DEP_2) | instskip(SKIP_2) | instid1(VALU_DEP_3)
	v_cndmask_b32_e32 v13, v18, v13, vcc_lo
	v_sub_co_u32 v18, vcc_lo, v10, s44
	v_subrev_co_ci_u32_e32 v9, vcc_lo, 0, v9, vcc_lo
	v_cmp_ne_u32_e32 vcc_lo, 0, v13
	v_cndmask_b32_e64 v12, v19, v12, s0
	s_delay_alu instid0(VALU_DEP_3) | instskip(NEXT) | instid1(VALU_DEP_2)
	v_dual_cndmask_b32 v9, v11, v9 :: v_dual_cndmask_b32 v10, v10, v18
	v_cmp_ne_u32_e32 vcc_lo, 0, v12
	s_delay_alu instid0(VALU_DEP_2) | instskip(NEXT) | instid1(VALU_DEP_1)
	v_dual_cndmask_b32 v8, v8, v10 :: v_dual_cndmask_b32 v3, v3, v9
	v_xor_b32_e32 v8, v8, v17
	s_delay_alu instid0(VALU_DEP_2) | instskip(NEXT) | instid1(VALU_DEP_2)
	v_xor_b32_e32 v3, v3, v17
	v_sub_co_u32 v8, vcc_lo, v8, v17
	s_delay_alu instid0(VALU_DEP_2)
	v_sub_co_ci_u32_e32 v9, vcc_lo, v3, v17, vcc_lo
.LBB17_9:                               ;   in Loop: Header=BB17_3 Depth=1
	s_and_not1_saveexec_b32 s0, s46
	s_cbranch_execz .LBB17_11
; %bb.10:                               ;   in Loop: Header=BB17_3 Depth=1
	v_cvt_f32_u32_e32 v3, s30
	s_sub_i32 s44, 0, s30
	v_mov_b32_e32 v9, v2
	s_delay_alu instid0(VALU_DEP_2) | instskip(SKIP_2) | instid1(VALU_DEP_1)
	v_rcp_iflag_f32_e32 v3, v3
	s_waitcnt_depctr 0xfff
	v_mul_f32_e32 v3, 0x4f7ffffe, v3
	v_cvt_u32_f32_e32 v3, v3
	s_delay_alu instid0(VALU_DEP_1) | instskip(NEXT) | instid1(VALU_DEP_1)
	v_mul_lo_u32 v8, s44, v3
	v_mul_hi_u32 v8, v3, v8
	s_delay_alu instid0(VALU_DEP_1) | instskip(NEXT) | instid1(VALU_DEP_1)
	v_add_nc_u32_e32 v3, v3, v8
	v_mul_hi_u32 v3, v6, v3
	s_delay_alu instid0(VALU_DEP_1) | instskip(NEXT) | instid1(VALU_DEP_1)
	v_mul_lo_u32 v3, v3, s30
	v_sub_nc_u32_e32 v3, v6, v3
	s_delay_alu instid0(VALU_DEP_1) | instskip(SKIP_1) | instid1(VALU_DEP_2)
	v_subrev_nc_u32_e32 v8, s30, v3
	v_cmp_le_u32_e32 vcc_lo, s30, v3
	v_cndmask_b32_e32 v3, v3, v8, vcc_lo
	s_delay_alu instid0(VALU_DEP_1) | instskip(SKIP_1) | instid1(VALU_DEP_2)
	v_subrev_nc_u32_e32 v8, s30, v3
	v_cmp_le_u32_e32 vcc_lo, s30, v3
	v_cndmask_b32_e32 v8, v3, v8, vcc_lo
.LBB17_11:                              ;   in Loop: Header=BB17_3 Depth=1
	s_or_b32 exec_lo, exec_lo, s0
	v_or_b32_e32 v3, s1, v15
                                        ; implicit-def: $vgpr12_vgpr13
	s_mov_b32 s0, exec_lo
	s_delay_alu instid0(VALU_DEP_1)
	v_cmpx_ne_u64_e32 0, v[2:3]
	s_xor_b32 s54, exec_lo, s0
	s_cbranch_execz .LBB17_13
; %bb.12:                               ;   in Loop: Header=BB17_3 Depth=1
	s_ashr_i32 s44, s1, 31
	s_delay_alu instid0(SALU_CYCLE_1) | instskip(SKIP_2) | instid1(SALU_CYCLE_1)
	s_add_u32 s46, s33, s44
	s_mov_b32 s45, s44
	s_addc_u32 s47, s1, s44
	s_xor_b64 s[46:47], s[46:47], s[44:45]
	s_delay_alu instid0(SALU_CYCLE_1) | instskip(SKIP_3) | instid1(VALU_DEP_1)
	v_cvt_f32_u32_e32 v3, s46
	v_cvt_f32_u32_e32 v10, s47
	s_sub_u32 s0, 0, s46
	s_subb_u32 s45, 0, s47
	v_fmac_f32_e32 v3, 0x4f800000, v10
	s_delay_alu instid0(VALU_DEP_1) | instskip(SKIP_2) | instid1(VALU_DEP_1)
	v_rcp_f32_e32 v3, v3
	s_waitcnt_depctr 0xfff
	v_mul_f32_e32 v3, 0x5f7ffffc, v3
	v_mul_f32_e32 v10, 0x2f800000, v3
	s_delay_alu instid0(VALU_DEP_1) | instskip(NEXT) | instid1(VALU_DEP_1)
	v_trunc_f32_e32 v10, v10
	v_fmac_f32_e32 v3, 0xcf800000, v10
	v_cvt_u32_f32_e32 v10, v10
	s_delay_alu instid0(VALU_DEP_2) | instskip(NEXT) | instid1(VALU_DEP_2)
	v_cvt_u32_f32_e32 v3, v3
	v_mul_lo_u32 v11, s0, v10
	s_delay_alu instid0(VALU_DEP_2) | instskip(SKIP_1) | instid1(VALU_DEP_2)
	v_mul_hi_u32 v12, s0, v3
	v_mul_lo_u32 v13, s45, v3
	v_add_nc_u32_e32 v11, v12, v11
	v_mul_lo_u32 v12, s0, v3
	s_delay_alu instid0(VALU_DEP_2) | instskip(NEXT) | instid1(VALU_DEP_2)
	v_add_nc_u32_e32 v11, v11, v13
	v_mul_hi_u32 v13, v3, v12
	s_delay_alu instid0(VALU_DEP_2)
	v_mul_lo_u32 v17, v3, v11
	v_mul_hi_u32 v18, v3, v11
	v_mul_hi_u32 v19, v10, v12
	v_mul_lo_u32 v12, v10, v12
	v_mul_hi_u32 v20, v10, v11
	v_mul_lo_u32 v11, v10, v11
	v_add_co_u32 v13, vcc_lo, v13, v17
	v_add_co_ci_u32_e32 v17, vcc_lo, 0, v18, vcc_lo
	s_delay_alu instid0(VALU_DEP_2) | instskip(NEXT) | instid1(VALU_DEP_2)
	v_add_co_u32 v12, vcc_lo, v13, v12
	v_add_co_ci_u32_e32 v12, vcc_lo, v17, v19, vcc_lo
	v_add_co_ci_u32_e32 v13, vcc_lo, 0, v20, vcc_lo
	v_ashrrev_i32_e32 v19, 31, v15
	s_delay_alu instid0(VALU_DEP_3) | instskip(NEXT) | instid1(VALU_DEP_3)
	v_add_co_u32 v11, vcc_lo, v12, v11
	v_add_co_ci_u32_e32 v12, vcc_lo, 0, v13, vcc_lo
	s_delay_alu instid0(VALU_DEP_2) | instskip(NEXT) | instid1(VALU_DEP_2)
	v_add_co_u32 v3, vcc_lo, v3, v11
	v_add_co_ci_u32_e32 v10, vcc_lo, v10, v12, vcc_lo
	s_delay_alu instid0(VALU_DEP_2) | instskip(SKIP_1) | instid1(VALU_DEP_3)
	v_mul_hi_u32 v11, s0, v3
	v_mul_lo_u32 v13, s45, v3
	v_mul_lo_u32 v12, s0, v10
	s_delay_alu instid0(VALU_DEP_1) | instskip(SKIP_1) | instid1(VALU_DEP_2)
	v_add_nc_u32_e32 v11, v11, v12
	v_mul_lo_u32 v12, s0, v3
	v_add_nc_u32_e32 v11, v11, v13
	s_delay_alu instid0(VALU_DEP_2) | instskip(NEXT) | instid1(VALU_DEP_2)
	v_mul_hi_u32 v13, v3, v12
	v_mul_lo_u32 v17, v3, v11
	v_mul_hi_u32 v18, v3, v11
	v_mul_hi_u32 v20, v10, v12
	v_mul_lo_u32 v12, v10, v12
	v_mul_hi_u32 v21, v10, v11
	v_mul_lo_u32 v11, v10, v11
	v_add_co_u32 v13, vcc_lo, v13, v17
	v_add_co_ci_u32_e32 v17, vcc_lo, 0, v18, vcc_lo
	s_delay_alu instid0(VALU_DEP_2) | instskip(NEXT) | instid1(VALU_DEP_2)
	v_add_co_u32 v12, vcc_lo, v13, v12
	v_add_co_ci_u32_e32 v12, vcc_lo, v17, v20, vcc_lo
	v_add_co_ci_u32_e32 v13, vcc_lo, 0, v21, vcc_lo
	v_add_co_u32 v17, vcc_lo, v16, v19
	v_add_co_ci_u32_e32 v18, vcc_lo, v15, v19, vcc_lo
	s_delay_alu instid0(VALU_DEP_4) | instskip(NEXT) | instid1(VALU_DEP_4)
	v_add_co_u32 v11, vcc_lo, v12, v11
	v_add_co_ci_u32_e32 v12, vcc_lo, 0, v13, vcc_lo
	s_delay_alu instid0(VALU_DEP_4) | instskip(NEXT) | instid1(VALU_DEP_3)
	v_xor_b32_e32 v20, v17, v19
	v_add_co_u32 v3, vcc_lo, v3, v11
	s_delay_alu instid0(VALU_DEP_3) | instskip(SKIP_1) | instid1(VALU_DEP_3)
	v_add_co_ci_u32_e32 v21, vcc_lo, v10, v12, vcc_lo
	v_xor_b32_e32 v22, v18, v19
	v_mul_hi_u32 v23, v20, v3
	s_delay_alu instid0(VALU_DEP_3) | instskip(NEXT) | instid1(VALU_DEP_3)
	v_mad_u64_u32 v[10:11], null, v20, v21, 0
	v_mad_u64_u32 v[12:13], null, v22, v3, 0
	;; [unrolled: 1-line block ×3, first 2 shown]
	s_delay_alu instid0(VALU_DEP_3) | instskip(NEXT) | instid1(VALU_DEP_4)
	v_add_co_u32 v3, vcc_lo, v23, v10
	v_add_co_ci_u32_e32 v10, vcc_lo, 0, v11, vcc_lo
	s_delay_alu instid0(VALU_DEP_2) | instskip(NEXT) | instid1(VALU_DEP_2)
	v_add_co_u32 v3, vcc_lo, v3, v12
	v_add_co_ci_u32_e32 v3, vcc_lo, v10, v13, vcc_lo
	v_add_co_ci_u32_e32 v10, vcc_lo, 0, v18, vcc_lo
	s_delay_alu instid0(VALU_DEP_2) | instskip(NEXT) | instid1(VALU_DEP_2)
	v_add_co_u32 v3, vcc_lo, v3, v17
	v_add_co_ci_u32_e32 v12, vcc_lo, 0, v10, vcc_lo
	s_delay_alu instid0(VALU_DEP_2) | instskip(SKIP_1) | instid1(VALU_DEP_3)
	v_mul_lo_u32 v13, s47, v3
	v_mad_u64_u32 v[10:11], null, s46, v3, 0
	v_mul_lo_u32 v17, s46, v12
	s_delay_alu instid0(VALU_DEP_2) | instskip(NEXT) | instid1(VALU_DEP_2)
	v_sub_co_u32 v10, vcc_lo, v20, v10
	v_add3_u32 v11, v11, v17, v13
	s_delay_alu instid0(VALU_DEP_1) | instskip(NEXT) | instid1(VALU_DEP_1)
	v_sub_nc_u32_e32 v13, v22, v11
	v_subrev_co_ci_u32_e64 v13, s0, s47, v13, vcc_lo
	v_add_co_u32 v17, s0, v3, 2
	s_delay_alu instid0(VALU_DEP_1) | instskip(SKIP_3) | instid1(VALU_DEP_3)
	v_add_co_ci_u32_e64 v18, s0, 0, v12, s0
	v_sub_co_u32 v20, s0, v10, s46
	v_sub_co_ci_u32_e32 v11, vcc_lo, v22, v11, vcc_lo
	v_subrev_co_ci_u32_e64 v13, s0, 0, v13, s0
	v_cmp_le_u32_e32 vcc_lo, s46, v20
	s_delay_alu instid0(VALU_DEP_3) | instskip(SKIP_1) | instid1(VALU_DEP_4)
	v_cmp_eq_u32_e64 s0, s47, v11
	v_cndmask_b32_e64 v20, 0, -1, vcc_lo
	v_cmp_le_u32_e32 vcc_lo, s47, v13
	v_cndmask_b32_e64 v21, 0, -1, vcc_lo
	v_cmp_le_u32_e32 vcc_lo, s46, v10
	;; [unrolled: 2-line block ×3, first 2 shown]
	v_cndmask_b32_e64 v22, 0, -1, vcc_lo
	v_cmp_eq_u32_e32 vcc_lo, s47, v13
	s_delay_alu instid0(VALU_DEP_2) | instskip(SKIP_3) | instid1(VALU_DEP_3)
	v_cndmask_b32_e64 v10, v22, v10, s0
	v_cndmask_b32_e32 v13, v21, v20, vcc_lo
	v_add_co_u32 v20, vcc_lo, v3, 1
	v_add_co_ci_u32_e32 v21, vcc_lo, 0, v12, vcc_lo
	v_cmp_ne_u32_e32 vcc_lo, 0, v13
	s_delay_alu instid0(VALU_DEP_2) | instskip(NEXT) | instid1(VALU_DEP_4)
	v_cndmask_b32_e32 v11, v21, v18, vcc_lo
	v_cndmask_b32_e32 v13, v20, v17, vcc_lo
	v_cmp_ne_u32_e32 vcc_lo, 0, v10
	v_xor_b32_e32 v10, s44, v19
	s_delay_alu instid0(VALU_DEP_3) | instskip(SKIP_1) | instid1(VALU_DEP_2)
	v_cndmask_b32_e32 v3, v3, v13, vcc_lo
	v_cndmask_b32_e32 v11, v12, v11, vcc_lo
	v_xor_b32_e32 v3, v3, v10
	s_delay_alu instid0(VALU_DEP_2) | instskip(NEXT) | instid1(VALU_DEP_2)
	v_xor_b32_e32 v11, v11, v10
	v_sub_co_u32 v12, vcc_lo, v3, v10
	s_delay_alu instid0(VALU_DEP_2)
	v_sub_co_ci_u32_e32 v13, vcc_lo, v11, v10, vcc_lo
.LBB17_13:                              ;   in Loop: Header=BB17_3 Depth=1
	s_and_not1_saveexec_b32 s0, s54
	s_cbranch_execz .LBB17_15
; %bb.14:                               ;   in Loop: Header=BB17_3 Depth=1
	v_cvt_f32_u32_e32 v3, s33
	s_sub_i32 s44, 0, s33
	v_mov_b32_e32 v13, v2
	s_delay_alu instid0(VALU_DEP_2) | instskip(SKIP_2) | instid1(VALU_DEP_1)
	v_rcp_iflag_f32_e32 v3, v3
	s_waitcnt_depctr 0xfff
	v_mul_f32_e32 v3, 0x4f7ffffe, v3
	v_cvt_u32_f32_e32 v3, v3
	s_delay_alu instid0(VALU_DEP_1) | instskip(NEXT) | instid1(VALU_DEP_1)
	v_mul_lo_u32 v10, s44, v3
	v_mul_hi_u32 v10, v3, v10
	s_delay_alu instid0(VALU_DEP_1) | instskip(NEXT) | instid1(VALU_DEP_1)
	v_add_nc_u32_e32 v3, v3, v10
	v_mul_hi_u32 v3, v1, v3
	s_delay_alu instid0(VALU_DEP_1) | instskip(SKIP_1) | instid1(VALU_DEP_2)
	v_mul_lo_u32 v10, v3, s33
	v_add_nc_u32_e32 v11, 1, v3
	v_sub_nc_u32_e32 v10, v1, v10
	s_delay_alu instid0(VALU_DEP_1) | instskip(SKIP_1) | instid1(VALU_DEP_2)
	v_subrev_nc_u32_e32 v12, s33, v10
	v_cmp_le_u32_e32 vcc_lo, s33, v10
	v_dual_cndmask_b32 v10, v10, v12 :: v_dual_cndmask_b32 v3, v3, v11
	s_delay_alu instid0(VALU_DEP_1) | instskip(NEXT) | instid1(VALU_DEP_2)
	v_cmp_le_u32_e32 vcc_lo, s33, v10
	v_add_nc_u32_e32 v11, 1, v3
	s_delay_alu instid0(VALU_DEP_1)
	v_cndmask_b32_e32 v12, v3, v11, vcc_lo
.LBB17_15:                              ;   in Loop: Header=BB17_3 Depth=1
	s_or_b32 exec_lo, exec_lo, s0
	s_delay_alu instid0(VALU_DEP_1) | instskip(SKIP_1) | instid1(VALU_DEP_1)
	v_or_b32_e32 v3, s41, v13
                                        ; implicit-def: $vgpr10_vgpr11
	s_mov_b32 s0, exec_lo
	v_cmpx_ne_u64_e32 0, v[2:3]
	s_xor_b32 s46, exec_lo, s0
	s_cbranch_execz .LBB17_17
; %bb.16:                               ;   in Loop: Header=BB17_3 Depth=1
	s_ashr_i32 s44, s41, 31
	s_delay_alu instid0(SALU_CYCLE_1) | instskip(SKIP_2) | instid1(SALU_CYCLE_1)
	s_add_u32 s54, s40, s44
	s_mov_b32 s45, s44
	s_addc_u32 s55, s41, s44
	s_xor_b64 s[44:45], s[54:55], s[44:45]
	s_delay_alu instid0(SALU_CYCLE_1) | instskip(SKIP_3) | instid1(VALU_DEP_1)
	v_cvt_f32_u32_e32 v3, s44
	v_cvt_f32_u32_e32 v10, s45
	s_sub_u32 s0, 0, s44
	s_subb_u32 s47, 0, s45
	v_fmac_f32_e32 v3, 0x4f800000, v10
	s_delay_alu instid0(VALU_DEP_1) | instskip(SKIP_2) | instid1(VALU_DEP_1)
	v_rcp_f32_e32 v3, v3
	s_waitcnt_depctr 0xfff
	v_mul_f32_e32 v3, 0x5f7ffffc, v3
	v_mul_f32_e32 v10, 0x2f800000, v3
	s_delay_alu instid0(VALU_DEP_1) | instskip(NEXT) | instid1(VALU_DEP_1)
	v_trunc_f32_e32 v10, v10
	v_fmac_f32_e32 v3, 0xcf800000, v10
	v_cvt_u32_f32_e32 v10, v10
	s_delay_alu instid0(VALU_DEP_2) | instskip(NEXT) | instid1(VALU_DEP_2)
	v_cvt_u32_f32_e32 v3, v3
	v_mul_lo_u32 v11, s0, v10
	s_delay_alu instid0(VALU_DEP_2) | instskip(SKIP_1) | instid1(VALU_DEP_2)
	v_mul_hi_u32 v17, s0, v3
	v_mul_lo_u32 v18, s47, v3
	v_add_nc_u32_e32 v11, v17, v11
	v_mul_lo_u32 v17, s0, v3
	s_delay_alu instid0(VALU_DEP_2) | instskip(NEXT) | instid1(VALU_DEP_2)
	v_add_nc_u32_e32 v11, v11, v18
	v_mul_hi_u32 v18, v3, v17
	s_delay_alu instid0(VALU_DEP_2)
	v_mul_lo_u32 v19, v3, v11
	v_mul_hi_u32 v20, v3, v11
	v_mul_hi_u32 v21, v10, v17
	v_mul_lo_u32 v17, v10, v17
	v_mul_hi_u32 v22, v10, v11
	v_mul_lo_u32 v11, v10, v11
	v_add_co_u32 v18, vcc_lo, v18, v19
	v_add_co_ci_u32_e32 v19, vcc_lo, 0, v20, vcc_lo
	s_delay_alu instid0(VALU_DEP_2) | instskip(NEXT) | instid1(VALU_DEP_2)
	v_add_co_u32 v17, vcc_lo, v18, v17
	v_add_co_ci_u32_e32 v17, vcc_lo, v19, v21, vcc_lo
	v_add_co_ci_u32_e32 v18, vcc_lo, 0, v22, vcc_lo
	v_ashrrev_i32_e32 v21, 31, v13
	s_delay_alu instid0(VALU_DEP_3) | instskip(NEXT) | instid1(VALU_DEP_3)
	v_add_co_u32 v11, vcc_lo, v17, v11
	v_add_co_ci_u32_e32 v17, vcc_lo, 0, v18, vcc_lo
	s_delay_alu instid0(VALU_DEP_2) | instskip(NEXT) | instid1(VALU_DEP_2)
	v_add_co_u32 v3, vcc_lo, v3, v11
	v_add_co_ci_u32_e32 v10, vcc_lo, v10, v17, vcc_lo
	s_delay_alu instid0(VALU_DEP_2) | instskip(SKIP_1) | instid1(VALU_DEP_3)
	v_mul_hi_u32 v11, s0, v3
	v_mul_lo_u32 v18, s47, v3
	v_mul_lo_u32 v17, s0, v10
	s_delay_alu instid0(VALU_DEP_1) | instskip(SKIP_1) | instid1(VALU_DEP_2)
	v_add_nc_u32_e32 v11, v11, v17
	v_mul_lo_u32 v17, s0, v3
	v_add_nc_u32_e32 v11, v11, v18
	s_delay_alu instid0(VALU_DEP_2) | instskip(NEXT) | instid1(VALU_DEP_2)
	v_mul_hi_u32 v18, v3, v17
	v_mul_lo_u32 v19, v3, v11
	v_mul_hi_u32 v20, v3, v11
	v_mul_hi_u32 v22, v10, v17
	v_mul_lo_u32 v17, v10, v17
	v_mul_hi_u32 v23, v10, v11
	v_mul_lo_u32 v11, v10, v11
	v_add_co_u32 v18, vcc_lo, v18, v19
	v_add_co_ci_u32_e32 v19, vcc_lo, 0, v20, vcc_lo
	s_delay_alu instid0(VALU_DEP_2) | instskip(NEXT) | instid1(VALU_DEP_2)
	v_add_co_u32 v17, vcc_lo, v18, v17
	v_add_co_ci_u32_e32 v17, vcc_lo, v19, v22, vcc_lo
	v_add_co_ci_u32_e32 v18, vcc_lo, 0, v23, vcc_lo
	v_add_co_u32 v12, vcc_lo, v12, v21
	v_add_co_ci_u32_e32 v13, vcc_lo, v13, v21, vcc_lo
	s_delay_alu instid0(VALU_DEP_4) | instskip(NEXT) | instid1(VALU_DEP_4)
	v_add_co_u32 v11, vcc_lo, v17, v11
	v_add_co_ci_u32_e32 v17, vcc_lo, 0, v18, vcc_lo
	s_delay_alu instid0(VALU_DEP_4) | instskip(NEXT) | instid1(VALU_DEP_3)
	v_xor_b32_e32 v19, v12, v21
	v_add_co_u32 v3, vcc_lo, v3, v11
	s_delay_alu instid0(VALU_DEP_3) | instskip(SKIP_1) | instid1(VALU_DEP_3)
	v_add_co_ci_u32_e32 v20, vcc_lo, v10, v17, vcc_lo
	v_xor_b32_e32 v22, v13, v21
	v_mul_hi_u32 v23, v19, v3
	s_delay_alu instid0(VALU_DEP_3) | instskip(NEXT) | instid1(VALU_DEP_3)
	v_mad_u64_u32 v[10:11], null, v19, v20, 0
	v_mad_u64_u32 v[12:13], null, v22, v3, 0
	;; [unrolled: 1-line block ×3, first 2 shown]
	s_delay_alu instid0(VALU_DEP_3) | instskip(NEXT) | instid1(VALU_DEP_4)
	v_add_co_u32 v3, vcc_lo, v23, v10
	v_add_co_ci_u32_e32 v10, vcc_lo, 0, v11, vcc_lo
	s_delay_alu instid0(VALU_DEP_2) | instskip(NEXT) | instid1(VALU_DEP_2)
	v_add_co_u32 v3, vcc_lo, v3, v12
	v_add_co_ci_u32_e32 v3, vcc_lo, v10, v13, vcc_lo
	v_add_co_ci_u32_e32 v10, vcc_lo, 0, v18, vcc_lo
	s_delay_alu instid0(VALU_DEP_2) | instskip(NEXT) | instid1(VALU_DEP_2)
	v_add_co_u32 v3, vcc_lo, v3, v17
	v_add_co_ci_u32_e32 v12, vcc_lo, 0, v10, vcc_lo
	s_delay_alu instid0(VALU_DEP_2) | instskip(SKIP_1) | instid1(VALU_DEP_3)
	v_mul_lo_u32 v13, s45, v3
	v_mad_u64_u32 v[10:11], null, s44, v3, 0
	v_mul_lo_u32 v3, s44, v12
	s_delay_alu instid0(VALU_DEP_2) | instskip(NEXT) | instid1(VALU_DEP_2)
	v_sub_co_u32 v10, vcc_lo, v19, v10
	v_add3_u32 v3, v11, v3, v13
	s_delay_alu instid0(VALU_DEP_1) | instskip(NEXT) | instid1(VALU_DEP_1)
	v_sub_nc_u32_e32 v11, v22, v3
	v_subrev_co_ci_u32_e64 v11, s0, s45, v11, vcc_lo
	v_sub_co_ci_u32_e32 v3, vcc_lo, v22, v3, vcc_lo
	v_sub_co_u32 v12, vcc_lo, v10, s44
	s_delay_alu instid0(VALU_DEP_1) | instskip(SKIP_3) | instid1(VALU_DEP_3)
	v_subrev_co_ci_u32_e64 v13, s0, 0, v11, vcc_lo
	v_cmp_le_u32_e64 s0, s44, v10
	v_subrev_co_ci_u32_e32 v11, vcc_lo, s45, v11, vcc_lo
	v_cmp_le_u32_e32 vcc_lo, s45, v3
	v_cndmask_b32_e64 v17, 0, -1, s0
	v_cmp_le_u32_e64 s0, s44, v12
	v_cndmask_b32_e64 v20, 0, -1, vcc_lo
	v_cmp_eq_u32_e32 vcc_lo, s45, v13
	s_delay_alu instid0(VALU_DEP_3) | instskip(SKIP_1) | instid1(VALU_DEP_1)
	v_cndmask_b32_e64 v18, 0, -1, s0
	v_cmp_le_u32_e64 s0, s45, v13
	v_cndmask_b32_e64 v19, 0, -1, s0
	v_cmp_eq_u32_e64 s0, s45, v3
	s_delay_alu instid0(VALU_DEP_2) | instskip(SKIP_2) | instid1(VALU_DEP_3)
	v_cndmask_b32_e32 v18, v19, v18, vcc_lo
	v_sub_co_u32 v19, vcc_lo, v12, s44
	v_subrev_co_ci_u32_e32 v11, vcc_lo, 0, v11, vcc_lo
	v_cmp_ne_u32_e32 vcc_lo, 0, v18
	v_cndmask_b32_e64 v17, v20, v17, s0
	s_delay_alu instid0(VALU_DEP_3) | instskip(SKIP_1) | instid1(VALU_DEP_3)
	v_cndmask_b32_e32 v11, v13, v11, vcc_lo
	v_cndmask_b32_e32 v12, v12, v19, vcc_lo
	v_cmp_ne_u32_e32 vcc_lo, 0, v17
	s_delay_alu instid0(VALU_DEP_2) | instskip(NEXT) | instid1(VALU_DEP_1)
	v_dual_cndmask_b32 v10, v10, v12 :: v_dual_cndmask_b32 v3, v3, v11
                                        ; implicit-def: $vgpr12_vgpr13
	v_xor_b32_e32 v10, v10, v21
	s_delay_alu instid0(VALU_DEP_2) | instskip(NEXT) | instid1(VALU_DEP_2)
	v_xor_b32_e32 v3, v3, v21
	v_sub_co_u32 v10, vcc_lo, v10, v21
	s_delay_alu instid0(VALU_DEP_2)
	v_sub_co_ci_u32_e32 v11, vcc_lo, v3, v21, vcc_lo
.LBB17_17:                              ;   in Loop: Header=BB17_3 Depth=1
	s_and_not1_saveexec_b32 s0, s46
	s_cbranch_execz .LBB17_19
; %bb.18:                               ;   in Loop: Header=BB17_3 Depth=1
	v_cvt_f32_u32_e32 v3, s40
	s_sub_i32 s44, 0, s40
	v_mov_b32_e32 v11, v2
	s_delay_alu instid0(VALU_DEP_2) | instskip(SKIP_2) | instid1(VALU_DEP_1)
	v_rcp_iflag_f32_e32 v3, v3
	s_waitcnt_depctr 0xfff
	v_mul_f32_e32 v3, 0x4f7ffffe, v3
	v_cvt_u32_f32_e32 v3, v3
	s_delay_alu instid0(VALU_DEP_1) | instskip(NEXT) | instid1(VALU_DEP_1)
	v_mul_lo_u32 v10, s44, v3
	v_mul_hi_u32 v10, v3, v10
	s_delay_alu instid0(VALU_DEP_1) | instskip(NEXT) | instid1(VALU_DEP_1)
	v_add_nc_u32_e32 v3, v3, v10
	v_mul_hi_u32 v3, v12, v3
	s_delay_alu instid0(VALU_DEP_1) | instskip(NEXT) | instid1(VALU_DEP_1)
	v_mul_lo_u32 v3, v3, s40
	v_sub_nc_u32_e32 v3, v12, v3
	s_delay_alu instid0(VALU_DEP_1) | instskip(SKIP_1) | instid1(VALU_DEP_2)
	v_subrev_nc_u32_e32 v10, s40, v3
	v_cmp_le_u32_e32 vcc_lo, s40, v3
	v_cndmask_b32_e32 v3, v3, v10, vcc_lo
	s_delay_alu instid0(VALU_DEP_1) | instskip(SKIP_1) | instid1(VALU_DEP_2)
	v_subrev_nc_u32_e32 v10, s40, v3
	v_cmp_le_u32_e32 vcc_lo, s40, v3
	v_cndmask_b32_e32 v10, v3, v10, vcc_lo
.LBB17_19:                              ;   in Loop: Header=BB17_3 Depth=1
	s_or_b32 exec_lo, exec_lo, s0
	v_mul_lo_u32 v3, v7, s28
	v_mul_lo_u32 v7, v6, s29
	v_mad_u64_u32 v[12:13], null, v6, s28, 0
	v_mul_lo_u32 v19, s7, v8
	v_mul_lo_u32 v20, s6, v9
	;; [unrolled: 1-line block ×4, first 2 shown]
	s_mov_b32 s44, -1
	s_mov_b32 s0, -1
	v_add3_u32 v6, v13, v7, v3
	v_sub_co_u32 v3, vcc_lo, v16, v12
	s_mov_b32 s45, exec_lo
                                        ; implicit-def: $sgpr47
	s_delay_alu instid0(VALU_DEP_2) | instskip(NEXT) | instid1(VALU_DEP_2)
	v_sub_co_ci_u32_e32 v12, vcc_lo, v15, v6, vcc_lo
	v_mul_lo_u32 v13, s5, v3
	v_mad_u64_u32 v[6:7], null, s4, v3, 0
	s_delay_alu instid0(VALU_DEP_3) | instskip(SKIP_1) | instid1(VALU_DEP_2)
	v_mul_lo_u32 v17, s4, v12
	v_mad_u64_u32 v[15:16], null, s6, v8, 0
	v_add3_u32 v7, v7, v17, v13
	v_mad_u64_u32 v[17:18], null, s8, v10, 0
	s_delay_alu instid0(VALU_DEP_3) | instskip(NEXT) | instid1(VALU_DEP_3)
	v_add3_u32 v16, v16, v20, v19
	v_lshlrev_b64 v[6:7], 3, v[6:7]
	s_delay_alu instid0(VALU_DEP_2) | instskip(NEXT) | instid1(VALU_DEP_4)
	v_lshlrev_b64 v[15:16], 3, v[15:16]
	v_add3_u32 v18, v18, v22, v21
	s_delay_alu instid0(VALU_DEP_3) | instskip(NEXT) | instid1(VALU_DEP_4)
	v_add_co_u32 v13, vcc_lo, s34, v6
	v_add_co_ci_u32_e32 v19, vcc_lo, s35, v7, vcc_lo
	s_delay_alu instid0(VALU_DEP_3) | instskip(NEXT) | instid1(VALU_DEP_3)
	v_lshlrev_b64 v[6:7], 3, v[17:18]
	v_add_co_u32 v13, vcc_lo, v13, v15
	s_delay_alu instid0(VALU_DEP_3) | instskip(NEXT) | instid1(VALU_DEP_2)
	v_add_co_ci_u32_e32 v15, vcc_lo, v19, v16, vcc_lo
	v_add_co_u32 v6, vcc_lo, v13, v6
	s_delay_alu instid0(VALU_DEP_2)
	v_add_co_ci_u32_e32 v7, vcc_lo, v15, v7, vcc_lo
	global_load_b64 v[6:7], v[6:7], off
	s_waitcnt vmcnt(0)
	v_cmpx_ne_u64_e64 s[38:39], v[6:7]
	s_cbranch_execz .LBB17_26
; %bb.20:                               ;   in Loop: Header=BB17_3 Depth=1
	v_cmp_lt_i64_e32 vcc_lo, -1, v[6:7]
	v_cmp_gt_i64_e64 s0, s[42:43], v[6:7]
	s_mov_b32 s46, 0
	s_delay_alu instid0(VALU_DEP_1) | instskip(NEXT) | instid1(SALU_CYCLE_1)
	s_and_b32 s47, vcc_lo, s0
	s_and_saveexec_b32 s0, s47
	s_cbranch_execz .LBB17_25
; %bb.21:                               ;   in Loop: Header=BB17_3 Depth=1
	s_and_not1_b32 vcc_lo, exec_lo, s48
	s_cbranch_vccnz .LBB17_23
; %bb.22:                               ;   in Loop: Header=BB17_3 Depth=1
	v_lshlrev_b64 v[15:16], 2, v[6:7]
	s_delay_alu instid0(VALU_DEP_1) | instskip(NEXT) | instid1(VALU_DEP_2)
	v_add_co_u32 v15, vcc_lo, s36, v15
	v_add_co_ci_u32_e32 v16, vcc_lo, s37, v16, vcc_lo
	global_load_b32 v13, v[15:16], off
	s_branch .LBB17_24
.LBB17_23:                              ;   in Loop: Header=BB17_3 Depth=1
	v_mov_b32_e32 v13, 1.0
.LBB17_24:                              ;   in Loop: Header=BB17_3 Depth=1
	v_mul_lo_u32 v17, s13, v3
	v_mul_lo_u32 v18, s12, v12
	v_mad_u64_u32 v[15:16], null, s12, v3, 0
	v_mul_lo_u32 v21, s15, v8
	v_mul_lo_u32 v22, s14, v9
	;; [unrolled: 1-line block ×4, first 2 shown]
	v_mad_u64_u32 v[19:20], null, s16, v10, 0
	v_add3_u32 v16, v16, v18, v17
	v_mad_u64_u32 v[17:18], null, s14, v8, 0
	v_mul_lo_u32 v12, s20, v12
	v_mul_lo_u32 v25, s26, v11
	s_delay_alu instid0(VALU_DEP_4)
	v_lshlrev_b64 v[15:16], 2, v[15:16]
	v_add3_u32 v20, v20, v24, v23
	v_mul_lo_u32 v23, s24, v9
	v_mul_lo_u32 v24, s27, v10
	v_add3_u32 v18, v18, v22, v21
	s_mov_b32 s46, exec_lo
	v_add_co_u32 v21, vcc_lo, s10, v15
	v_add_co_ci_u32_e32 v22, vcc_lo, s11, v16, vcc_lo
	s_delay_alu instid0(VALU_DEP_3) | instskip(SKIP_2) | instid1(VALU_DEP_3)
	v_lshlrev_b64 v[17:18], 2, v[17:18]
	v_lshlrev_b64 v[15:16], 2, v[19:20]
	v_mul_lo_u32 v20, s21, v3
	v_add_co_u32 v17, vcc_lo, v21, v17
	s_delay_alu instid0(VALU_DEP_4) | instskip(SKIP_1) | instid1(VALU_DEP_3)
	v_add_co_ci_u32_e32 v18, vcc_lo, v22, v18, vcc_lo
	v_mul_lo_u32 v21, s22, v7
	v_add_co_u32 v15, vcc_lo, v17, v15
	s_delay_alu instid0(VALU_DEP_3)
	v_add_co_ci_u32_e32 v16, vcc_lo, v18, v16, vcc_lo
	v_mad_u64_u32 v[17:18], null, s22, v6, 0
	v_mul_lo_u32 v22, s25, v8
	global_load_b32 v19, v[15:16], off
	v_mad_u64_u32 v[15:16], null, s20, v3, 0
	v_mul_lo_u32 v3, s23, v6
	v_mad_u64_u32 v[6:7], null, s24, v8, 0
	v_mad_u64_u32 v[8:9], null, s26, v10, 0
	s_delay_alu instid0(VALU_DEP_4) | instskip(NEXT) | instid1(VALU_DEP_4)
	v_add3_u32 v16, v16, v12, v20
	v_add3_u32 v18, v18, v21, v3
	s_delay_alu instid0(VALU_DEP_4) | instskip(NEXT) | instid1(VALU_DEP_3)
	v_add3_u32 v7, v7, v23, v22
	v_lshlrev_b64 v[10:11], 2, v[15:16]
	v_add3_u32 v9, v9, v25, v24
	s_delay_alu instid0(VALU_DEP_4) | instskip(NEXT) | instid1(VALU_DEP_4)
	v_lshlrev_b64 v[15:16], 2, v[17:18]
	v_lshlrev_b64 v[6:7], 2, v[6:7]
	s_delay_alu instid0(VALU_DEP_4) | instskip(SKIP_2) | instid1(VALU_DEP_3)
	v_add_co_u32 v3, vcc_lo, s18, v10
	v_add_co_ci_u32_e32 v10, vcc_lo, s19, v11, vcc_lo
	v_lshlrev_b64 v[8:9], 2, v[8:9]
	v_add_co_u32 v3, vcc_lo, v3, v15
	s_delay_alu instid0(VALU_DEP_3) | instskip(NEXT) | instid1(VALU_DEP_2)
	v_add_co_ci_u32_e32 v10, vcc_lo, v10, v16, vcc_lo
	v_add_co_u32 v3, vcc_lo, v3, v6
	s_delay_alu instid0(VALU_DEP_2) | instskip(NEXT) | instid1(VALU_DEP_2)
	v_add_co_ci_u32_e32 v7, vcc_lo, v10, v7, vcc_lo
	v_add_co_u32 v6, vcc_lo, v3, v8
	s_delay_alu instid0(VALU_DEP_2)
	v_add_co_ci_u32_e32 v7, vcc_lo, v7, v9, vcc_lo
	s_waitcnt vmcnt(0)
	v_mul_f32_e64 v10, v19, -v13
	global_store_b32 v[6:7], v10, off
.LBB17_25:                              ;   in Loop: Header=BB17_3 Depth=1
	s_or_b32 exec_lo, exec_lo, s0
	s_mov_b32 s47, -1
	s_or_not1_b32 s0, s46, exec_lo
.LBB17_26:                              ;   in Loop: Header=BB17_3 Depth=1
	s_or_b32 exec_lo, exec_lo, s45
	s_delay_alu instid0(SALU_CYCLE_1) | instskip(SKIP_1) | instid1(SALU_CYCLE_1)
	s_and_not1_b32 s45, s53, exec_lo
	s_and_b32 s46, s47, exec_lo
	s_or_b32 s53, s45, s46
	s_and_saveexec_b32 s45, s0
	s_cbranch_execz .LBB17_2
; %bb.27:                               ;   in Loop: Header=BB17_3 Depth=1
	v_add_co_u32 v4, vcc_lo, v4, s50
	v_add_co_ci_u32_e32 v5, vcc_lo, 0, v5, vcc_lo
	v_add_co_u32 v0, s0, v0, 0
	s_delay_alu instid0(VALU_DEP_1) | instskip(NEXT) | instid1(VALU_DEP_3)
	v_add_co_ci_u32_e64 v1, s0, s52, v1, s0
	v_cmp_le_i64_e32 vcc_lo, s[2:3], v[4:5]
	s_and_not1_b32 s53, s53, exec_lo
	s_or_not1_b32 s44, vcc_lo, exec_lo
	s_branch .LBB17_2
.LBB17_28:
	s_or_b32 exec_lo, exec_lo, s49
	s_and_saveexec_b32 s0, s51
	s_delay_alu instid0(SALU_CYCLE_1)
	s_xor_b32 s0, exec_lo, s0
	s_cbranch_execnz .LBB17_30
.LBB17_29:
	s_nop 0
	s_sendmsg sendmsg(MSG_DEALLOC_VGPRS)
	s_endpgm
.LBB17_30:
	s_cbranch_execnz .LBB17_32
; %bb.31:
	; divergent unreachable
	s_nop 0
	s_sendmsg sendmsg(MSG_DEALLOC_VGPRS)
	s_endpgm
.LBB17_32:
	s_trap 2
	s_sendmsg_rtn_b32 s0, sendmsg(MSG_RTN_GET_DOORBELL)
	s_mov_b32 ttmp2, m0
	s_waitcnt lgkmcnt(0)
	s_and_b32 s0, s0, 0x3ff
	s_delay_alu instid0(SALU_CYCLE_1) | instskip(NEXT) | instid1(SALU_CYCLE_1)
	s_bitset1_b32 s0, 10
	s_mov_b32 m0, s0
	s_sendmsg sendmsg(MSG_INTERRUPT)
	s_mov_b32 m0, ttmp2
.LBB17_33:                              ; =>This Inner Loop Header: Depth=1
	s_sethalt 5
	s_branch .LBB17_33
	.section	.rodata,"a",@progbits
	.p2align	6, 0x0
	.amdhsa_kernel _ZN2at6native12_GLOBAL__N_136nll_loss2d_backward_no_reduce_kernelIfEEvlN5torch10headeronly6detail27GenericPackedTensorAccessorINS5_14TensorAccessorIN3c108ArrayRefIlEElLm2ENS4_16DefaultPtrTraitsElEENS_6detail16IndexBoundsCheckILm3ElEElLm3ESB_lEENS6_INS7_ISA_T_Lm2ESB_lEESF_SH_Lm3ESB_lEENS6_INS7_ISA_SH_Lm3ESB_lEENSE_ILm4ElEESH_Lm4ESB_lEEPKSH_l
		.amdhsa_group_segment_fixed_size 0
		.amdhsa_private_segment_fixed_size 0
		.amdhsa_kernarg_size 464
		.amdhsa_user_sgpr_count 15
		.amdhsa_user_sgpr_dispatch_ptr 0
		.amdhsa_user_sgpr_queue_ptr 0
		.amdhsa_user_sgpr_kernarg_segment_ptr 1
		.amdhsa_user_sgpr_dispatch_id 0
		.amdhsa_user_sgpr_private_segment_size 0
		.amdhsa_wavefront_size32 1
		.amdhsa_uses_dynamic_stack 0
		.amdhsa_enable_private_segment 0
		.amdhsa_system_sgpr_workgroup_id_x 1
		.amdhsa_system_sgpr_workgroup_id_y 0
		.amdhsa_system_sgpr_workgroup_id_z 0
		.amdhsa_system_sgpr_workgroup_info 0
		.amdhsa_system_vgpr_workitem_id 0
		.amdhsa_next_free_vgpr 26
		.amdhsa_next_free_sgpr 56
		.amdhsa_reserve_vcc 1
		.amdhsa_float_round_mode_32 0
		.amdhsa_float_round_mode_16_64 0
		.amdhsa_float_denorm_mode_32 3
		.amdhsa_float_denorm_mode_16_64 3
		.amdhsa_dx10_clamp 1
		.amdhsa_ieee_mode 1
		.amdhsa_fp16_overflow 0
		.amdhsa_workgroup_processor_mode 1
		.amdhsa_memory_ordered 1
		.amdhsa_forward_progress 0
		.amdhsa_shared_vgpr_count 0
		.amdhsa_exception_fp_ieee_invalid_op 0
		.amdhsa_exception_fp_denorm_src 0
		.amdhsa_exception_fp_ieee_div_zero 0
		.amdhsa_exception_fp_ieee_overflow 0
		.amdhsa_exception_fp_ieee_underflow 0
		.amdhsa_exception_fp_ieee_inexact 0
		.amdhsa_exception_int_div_zero 0
	.end_amdhsa_kernel
	.section	.text._ZN2at6native12_GLOBAL__N_136nll_loss2d_backward_no_reduce_kernelIfEEvlN5torch10headeronly6detail27GenericPackedTensorAccessorINS5_14TensorAccessorIN3c108ArrayRefIlEElLm2ENS4_16DefaultPtrTraitsElEENS_6detail16IndexBoundsCheckILm3ElEElLm3ESB_lEENS6_INS7_ISA_T_Lm2ESB_lEESF_SH_Lm3ESB_lEENS6_INS7_ISA_SH_Lm3ESB_lEENSE_ILm4ElEESH_Lm4ESB_lEEPKSH_l,"axG",@progbits,_ZN2at6native12_GLOBAL__N_136nll_loss2d_backward_no_reduce_kernelIfEEvlN5torch10headeronly6detail27GenericPackedTensorAccessorINS5_14TensorAccessorIN3c108ArrayRefIlEElLm2ENS4_16DefaultPtrTraitsElEENS_6detail16IndexBoundsCheckILm3ElEElLm3ESB_lEENS6_INS7_ISA_T_Lm2ESB_lEESF_SH_Lm3ESB_lEENS6_INS7_ISA_SH_Lm3ESB_lEENSE_ILm4ElEESH_Lm4ESB_lEEPKSH_l,comdat
.Lfunc_end17:
	.size	_ZN2at6native12_GLOBAL__N_136nll_loss2d_backward_no_reduce_kernelIfEEvlN5torch10headeronly6detail27GenericPackedTensorAccessorINS5_14TensorAccessorIN3c108ArrayRefIlEElLm2ENS4_16DefaultPtrTraitsElEENS_6detail16IndexBoundsCheckILm3ElEElLm3ESB_lEENS6_INS7_ISA_T_Lm2ESB_lEESF_SH_Lm3ESB_lEENS6_INS7_ISA_SH_Lm3ESB_lEENSE_ILm4ElEESH_Lm4ESB_lEEPKSH_l, .Lfunc_end17-_ZN2at6native12_GLOBAL__N_136nll_loss2d_backward_no_reduce_kernelIfEEvlN5torch10headeronly6detail27GenericPackedTensorAccessorINS5_14TensorAccessorIN3c108ArrayRefIlEElLm2ENS4_16DefaultPtrTraitsElEENS_6detail16IndexBoundsCheckILm3ElEElLm3ESB_lEENS6_INS7_ISA_T_Lm2ESB_lEESF_SH_Lm3ESB_lEENS6_INS7_ISA_SH_Lm3ESB_lEENSE_ILm4ElEESH_Lm4ESB_lEEPKSH_l
                                        ; -- End function
	.section	.AMDGPU.csdata,"",@progbits
; Kernel info:
; codeLenInByte = 5208
; NumSgprs: 58
; NumVgprs: 26
; ScratchSize: 0
; MemoryBound: 0
; FloatMode: 240
; IeeeMode: 1
; LDSByteSize: 0 bytes/workgroup (compile time only)
; SGPRBlocks: 7
; VGPRBlocks: 3
; NumSGPRsForWavesPerEU: 58
; NumVGPRsForWavesPerEU: 26
; Occupancy: 16
; WaveLimiterHint : 1
; COMPUTE_PGM_RSRC2:SCRATCH_EN: 0
; COMPUTE_PGM_RSRC2:USER_SGPR: 15
; COMPUTE_PGM_RSRC2:TRAP_HANDLER: 0
; COMPUTE_PGM_RSRC2:TGID_X_EN: 1
; COMPUTE_PGM_RSRC2:TGID_Y_EN: 0
; COMPUTE_PGM_RSRC2:TGID_Z_EN: 0
; COMPUTE_PGM_RSRC2:TIDIG_COMP_CNT: 0
	.section	.text._ZN2at6native12_GLOBAL__N_136nll_loss2d_backward_no_reduce_kernelIN3c104HalfEEEvlN5torch10headeronly6detail27GenericPackedTensorAccessorINS7_14TensorAccessorINS3_8ArrayRefIlEElLm2ENS6_16DefaultPtrTraitsElEENS_6detail16IndexBoundsCheckILm3ElEElLm3ESC_lEENS8_INS9_ISB_T_Lm2ESC_lEESG_SI_Lm3ESC_lEENS8_INS9_ISB_SI_Lm3ESC_lEENSF_ILm4ElEESI_Lm4ESC_lEEPKSI_l,"axG",@progbits,_ZN2at6native12_GLOBAL__N_136nll_loss2d_backward_no_reduce_kernelIN3c104HalfEEEvlN5torch10headeronly6detail27GenericPackedTensorAccessorINS7_14TensorAccessorINS3_8ArrayRefIlEElLm2ENS6_16DefaultPtrTraitsElEENS_6detail16IndexBoundsCheckILm3ElEElLm3ESC_lEENS8_INS9_ISB_T_Lm2ESC_lEESG_SI_Lm3ESC_lEENS8_INS9_ISB_SI_Lm3ESC_lEENSF_ILm4ElEESI_Lm4ESC_lEEPKSI_l,comdat
	.globl	_ZN2at6native12_GLOBAL__N_136nll_loss2d_backward_no_reduce_kernelIN3c104HalfEEEvlN5torch10headeronly6detail27GenericPackedTensorAccessorINS7_14TensorAccessorINS3_8ArrayRefIlEElLm2ENS6_16DefaultPtrTraitsElEENS_6detail16IndexBoundsCheckILm3ElEElLm3ESC_lEENS8_INS9_ISB_T_Lm2ESC_lEESG_SI_Lm3ESC_lEENS8_INS9_ISB_SI_Lm3ESC_lEENSF_ILm4ElEESI_Lm4ESC_lEEPKSI_l ; -- Begin function _ZN2at6native12_GLOBAL__N_136nll_loss2d_backward_no_reduce_kernelIN3c104HalfEEEvlN5torch10headeronly6detail27GenericPackedTensorAccessorINS7_14TensorAccessorINS3_8ArrayRefIlEElLm2ENS6_16DefaultPtrTraitsElEENS_6detail16IndexBoundsCheckILm3ElEElLm3ESC_lEENS8_INS9_ISB_T_Lm2ESC_lEESG_SI_Lm3ESC_lEENS8_INS9_ISB_SI_Lm3ESC_lEENSF_ILm4ElEESI_Lm4ESC_lEEPKSI_l
	.p2align	8
	.type	_ZN2at6native12_GLOBAL__N_136nll_loss2d_backward_no_reduce_kernelIN3c104HalfEEEvlN5torch10headeronly6detail27GenericPackedTensorAccessorINS7_14TensorAccessorINS3_8ArrayRefIlEElLm2ENS6_16DefaultPtrTraitsElEENS_6detail16IndexBoundsCheckILm3ElEElLm3ESC_lEENS8_INS9_ISB_T_Lm2ESC_lEESG_SI_Lm3ESC_lEENS8_INS9_ISB_SI_Lm3ESC_lEENSF_ILm4ElEESI_Lm4ESC_lEEPKSI_l,@function
_ZN2at6native12_GLOBAL__N_136nll_loss2d_backward_no_reduce_kernelIN3c104HalfEEEvlN5torch10headeronly6detail27GenericPackedTensorAccessorINS7_14TensorAccessorINS3_8ArrayRefIlEElLm2ENS6_16DefaultPtrTraitsElEENS_6detail16IndexBoundsCheckILm3ElEElLm3ESC_lEENS8_INS9_ISB_T_Lm2ESC_lEESG_SI_Lm3ESC_lEENS8_INS9_ISB_SI_Lm3ESC_lEENSF_ILm4ElEESI_Lm4ESC_lEEPKSI_l: ; @_ZN2at6native12_GLOBAL__N_136nll_loss2d_backward_no_reduce_kernelIN3c104HalfEEEvlN5torch10headeronly6detail27GenericPackedTensorAccessorINS7_14TensorAccessorINS3_8ArrayRefIlEElLm2ENS6_16DefaultPtrTraitsElEENS_6detail16IndexBoundsCheckILm3ElEElLm3ESC_lEENS8_INS9_ISB_T_Lm2ESC_lEESG_SI_Lm3ESC_lEENS8_INS9_ISB_SI_Lm3ESC_lEENSF_ILm4ElEESI_Lm4ESC_lEEPKSI_l
; %bb.0:
	s_clause 0x1
	s_load_b32 s4, s[0:1], 0xdc
	s_load_b64 s[2:3], s[0:1], 0x0
	v_mov_b32_e32 v2, 0
	s_add_u32 s12, s0, 0xd0
	s_addc_u32 s13, s1, 0
	s_delay_alu instid0(VALU_DEP_1) | instskip(SKIP_3) | instid1(VALU_DEP_1)
	v_mov_b32_e32 v1, v2
	s_waitcnt lgkmcnt(0)
	s_and_b32 s44, s4, 0xffff
	s_mov_b32 s4, exec_lo
	v_mad_u64_u32 v[4:5], null, s44, s15, v[0:1]
	s_delay_alu instid0(VALU_DEP_1)
	v_cmpx_gt_i64_e64 s[2:3], v[4:5]
	s_cbranch_execz .LBB18_29
; %bb.1:
	s_clause 0x4
	s_load_b128 s[28:31], s[0:1], 0x10
	s_load_b128 s[36:39], s[0:1], 0xc0
	s_load_b64 s[34:35], s[0:1], 0x8
	s_load_b64 s[40:41], s[0:1], 0x20
	s_load_b256 s[4:11], s[0:1], 0x28
	s_load_b32 s45, s[12:13], 0x0
	s_clause 0x2
	s_load_b64 s[42:43], s[0:1], 0x88
	s_load_b256 s[12:19], s[0:1], 0x60
	s_load_b256 s[20:27], s[0:1], 0xa0
	s_mov_b32 s49, 0
                                        ; implicit-def: $sgpr51
                                        ; implicit-def: $sgpr53
	s_waitcnt lgkmcnt(0)
	v_cvt_f32_u32_e32 v0, s28
	s_mul_i32 s0, s30, s29
	s_mul_hi_u32 s1, s30, s28
	s_mul_i32 s33, s31, s28
	s_add_i32 s0, s1, s0
	v_rcp_iflag_f32_e32 v0, v0
	v_mov_b32_e32 v3, v4
	s_add_i32 s1, s0, s33
	s_cmp_lg_u64 s[36:37], 0
	s_mul_i32 s50, s45, s44
	s_mul_i32 s33, s30, s28
	s_cselect_b32 s48, -1, 0
	s_mov_b32 s52, s50
	s_waitcnt_depctr 0xfff
	v_mul_f32_e32 v0, 0x4f7ffffe, v0
	s_delay_alu instid0(VALU_DEP_1)
	v_cvt_u32_f32_e32 v14, v0
	v_dual_mov_b32 v0, v2 :: v_dual_mov_b32 v1, v3
	s_branch .LBB18_3
.LBB18_2:                               ;   in Loop: Header=BB18_3 Depth=1
	s_or_b32 exec_lo, exec_lo, s45
	s_delay_alu instid0(SALU_CYCLE_1) | instskip(NEXT) | instid1(SALU_CYCLE_1)
	s_and_b32 s0, exec_lo, s44
	s_or_b32 s49, s0, s49
	s_and_not1_b32 s0, s51, exec_lo
	s_and_b32 s44, s53, exec_lo
	s_delay_alu instid0(SALU_CYCLE_1)
	s_or_b32 s51, s0, s44
	s_and_not1_b32 exec_lo, exec_lo, s49
	s_cbranch_execz .LBB18_28
.LBB18_3:                               ; =>This Inner Loop Header: Depth=1
	s_delay_alu instid0(VALU_DEP_1) | instskip(SKIP_2) | instid1(VALU_DEP_2)
	v_ashrrev_i32_e32 v15, 31, v1
	v_mov_b32_e32 v16, v1
                                        ; implicit-def: $vgpr6_vgpr7
	s_mov_b32 s0, exec_lo
	v_or_b32_e32 v3, s29, v15
	s_delay_alu instid0(VALU_DEP_1)
	v_cmpx_ne_u64_e32 0, v[2:3]
	s_xor_b32 s54, exec_lo, s0
	s_cbranch_execz .LBB18_5
; %bb.4:                                ;   in Loop: Header=BB18_3 Depth=1
	s_ashr_i32 s44, s29, 31
	s_delay_alu instid0(SALU_CYCLE_1) | instskip(SKIP_2) | instid1(SALU_CYCLE_1)
	s_add_u32 s46, s28, s44
	s_mov_b32 s45, s44
	s_addc_u32 s47, s29, s44
	s_xor_b64 s[46:47], s[46:47], s[44:45]
	s_delay_alu instid0(SALU_CYCLE_1) | instskip(SKIP_3) | instid1(VALU_DEP_1)
	v_cvt_f32_u32_e32 v3, s46
	v_cvt_f32_u32_e32 v6, s47
	s_sub_u32 s0, 0, s46
	s_subb_u32 s45, 0, s47
	v_fmac_f32_e32 v3, 0x4f800000, v6
	s_delay_alu instid0(VALU_DEP_1) | instskip(SKIP_2) | instid1(VALU_DEP_1)
	v_rcp_f32_e32 v3, v3
	s_waitcnt_depctr 0xfff
	v_mul_f32_e32 v3, 0x5f7ffffc, v3
	v_mul_f32_e32 v6, 0x2f800000, v3
	s_delay_alu instid0(VALU_DEP_1) | instskip(NEXT) | instid1(VALU_DEP_1)
	v_trunc_f32_e32 v6, v6
	v_fmac_f32_e32 v3, 0xcf800000, v6
	v_cvt_u32_f32_e32 v6, v6
	s_delay_alu instid0(VALU_DEP_2) | instskip(NEXT) | instid1(VALU_DEP_2)
	v_cvt_u32_f32_e32 v3, v3
	v_mul_lo_u32 v7, s0, v6
	s_delay_alu instid0(VALU_DEP_2) | instskip(SKIP_1) | instid1(VALU_DEP_2)
	v_mul_hi_u32 v8, s0, v3
	v_mul_lo_u32 v9, s45, v3
	v_add_nc_u32_e32 v7, v8, v7
	v_mul_lo_u32 v8, s0, v3
	s_delay_alu instid0(VALU_DEP_2) | instskip(NEXT) | instid1(VALU_DEP_2)
	v_add_nc_u32_e32 v7, v7, v9
	v_mul_hi_u32 v9, v3, v8
	s_delay_alu instid0(VALU_DEP_2)
	v_mul_lo_u32 v10, v3, v7
	v_mul_hi_u32 v11, v3, v7
	v_mul_hi_u32 v12, v6, v8
	v_mul_lo_u32 v8, v6, v8
	v_mul_hi_u32 v13, v6, v7
	v_mul_lo_u32 v7, v6, v7
	v_add_co_u32 v9, vcc_lo, v9, v10
	v_add_co_ci_u32_e32 v10, vcc_lo, 0, v11, vcc_lo
	s_delay_alu instid0(VALU_DEP_2) | instskip(NEXT) | instid1(VALU_DEP_2)
	v_add_co_u32 v8, vcc_lo, v9, v8
	v_add_co_ci_u32_e32 v8, vcc_lo, v10, v12, vcc_lo
	v_add_co_ci_u32_e32 v9, vcc_lo, 0, v13, vcc_lo
	v_ashrrev_i32_e32 v12, 31, v15
	s_delay_alu instid0(VALU_DEP_3) | instskip(NEXT) | instid1(VALU_DEP_3)
	v_add_co_u32 v7, vcc_lo, v8, v7
	v_add_co_ci_u32_e32 v8, vcc_lo, 0, v9, vcc_lo
	s_delay_alu instid0(VALU_DEP_2) | instskip(NEXT) | instid1(VALU_DEP_2)
	v_add_co_u32 v3, vcc_lo, v3, v7
	v_add_co_ci_u32_e32 v6, vcc_lo, v6, v8, vcc_lo
	s_delay_alu instid0(VALU_DEP_2) | instskip(SKIP_1) | instid1(VALU_DEP_3)
	v_mul_hi_u32 v7, s0, v3
	v_mul_lo_u32 v9, s45, v3
	v_mul_lo_u32 v8, s0, v6
	s_delay_alu instid0(VALU_DEP_1) | instskip(SKIP_1) | instid1(VALU_DEP_2)
	v_add_nc_u32_e32 v7, v7, v8
	v_mul_lo_u32 v8, s0, v3
	v_add_nc_u32_e32 v7, v7, v9
	s_delay_alu instid0(VALU_DEP_2) | instskip(NEXT) | instid1(VALU_DEP_2)
	v_mul_hi_u32 v9, v3, v8
	v_mul_lo_u32 v10, v3, v7
	v_mul_hi_u32 v11, v3, v7
	v_mul_hi_u32 v13, v6, v8
	v_mul_lo_u32 v8, v6, v8
	v_mul_hi_u32 v17, v6, v7
	v_mul_lo_u32 v7, v6, v7
	v_add_co_u32 v9, vcc_lo, v9, v10
	v_add_co_ci_u32_e32 v10, vcc_lo, 0, v11, vcc_lo
	s_delay_alu instid0(VALU_DEP_2) | instskip(NEXT) | instid1(VALU_DEP_2)
	v_add_co_u32 v8, vcc_lo, v9, v8
	v_add_co_ci_u32_e32 v8, vcc_lo, v10, v13, vcc_lo
	v_add_co_ci_u32_e32 v9, vcc_lo, 0, v17, vcc_lo
	v_add_co_u32 v10, vcc_lo, v16, v12
	v_add_co_ci_u32_e32 v11, vcc_lo, v15, v12, vcc_lo
	s_delay_alu instid0(VALU_DEP_4) | instskip(NEXT) | instid1(VALU_DEP_4)
	v_add_co_u32 v7, vcc_lo, v8, v7
	v_add_co_ci_u32_e32 v8, vcc_lo, 0, v9, vcc_lo
	s_delay_alu instid0(VALU_DEP_4) | instskip(NEXT) | instid1(VALU_DEP_3)
	v_xor_b32_e32 v13, v10, v12
	v_add_co_u32 v3, vcc_lo, v3, v7
	s_delay_alu instid0(VALU_DEP_3) | instskip(SKIP_1) | instid1(VALU_DEP_3)
	v_add_co_ci_u32_e32 v17, vcc_lo, v6, v8, vcc_lo
	v_xor_b32_e32 v18, v11, v12
	v_mul_hi_u32 v19, v13, v3
	s_delay_alu instid0(VALU_DEP_3) | instskip(NEXT) | instid1(VALU_DEP_3)
	v_mad_u64_u32 v[6:7], null, v13, v17, 0
	v_mad_u64_u32 v[8:9], null, v18, v3, 0
	;; [unrolled: 1-line block ×3, first 2 shown]
	s_delay_alu instid0(VALU_DEP_3) | instskip(NEXT) | instid1(VALU_DEP_4)
	v_add_co_u32 v3, vcc_lo, v19, v6
	v_add_co_ci_u32_e32 v6, vcc_lo, 0, v7, vcc_lo
	s_delay_alu instid0(VALU_DEP_2) | instskip(NEXT) | instid1(VALU_DEP_2)
	v_add_co_u32 v3, vcc_lo, v3, v8
	v_add_co_ci_u32_e32 v3, vcc_lo, v6, v9, vcc_lo
	v_add_co_ci_u32_e32 v6, vcc_lo, 0, v11, vcc_lo
	s_delay_alu instid0(VALU_DEP_2) | instskip(NEXT) | instid1(VALU_DEP_2)
	v_add_co_u32 v3, vcc_lo, v3, v10
	v_add_co_ci_u32_e32 v8, vcc_lo, 0, v6, vcc_lo
	s_delay_alu instid0(VALU_DEP_2) | instskip(SKIP_1) | instid1(VALU_DEP_3)
	v_mul_lo_u32 v9, s47, v3
	v_mad_u64_u32 v[6:7], null, s46, v3, 0
	v_mul_lo_u32 v10, s46, v8
	s_delay_alu instid0(VALU_DEP_2) | instskip(NEXT) | instid1(VALU_DEP_2)
	v_sub_co_u32 v6, vcc_lo, v13, v6
	v_add3_u32 v7, v7, v10, v9
	s_delay_alu instid0(VALU_DEP_1) | instskip(NEXT) | instid1(VALU_DEP_1)
	v_sub_nc_u32_e32 v9, v18, v7
	v_subrev_co_ci_u32_e64 v9, s0, s47, v9, vcc_lo
	v_add_co_u32 v10, s0, v3, 2
	s_delay_alu instid0(VALU_DEP_1) | instskip(SKIP_3) | instid1(VALU_DEP_3)
	v_add_co_ci_u32_e64 v11, s0, 0, v8, s0
	v_sub_co_u32 v13, s0, v6, s46
	v_sub_co_ci_u32_e32 v7, vcc_lo, v18, v7, vcc_lo
	v_subrev_co_ci_u32_e64 v9, s0, 0, v9, s0
	v_cmp_le_u32_e32 vcc_lo, s46, v13
	s_delay_alu instid0(VALU_DEP_3) | instskip(SKIP_1) | instid1(VALU_DEP_4)
	v_cmp_eq_u32_e64 s0, s47, v7
	v_cndmask_b32_e64 v13, 0, -1, vcc_lo
	v_cmp_le_u32_e32 vcc_lo, s47, v9
	v_cndmask_b32_e64 v17, 0, -1, vcc_lo
	v_cmp_le_u32_e32 vcc_lo, s46, v6
	;; [unrolled: 2-line block ×3, first 2 shown]
	v_cndmask_b32_e64 v18, 0, -1, vcc_lo
	v_cmp_eq_u32_e32 vcc_lo, s47, v9
	s_delay_alu instid0(VALU_DEP_2) | instskip(SKIP_3) | instid1(VALU_DEP_3)
	v_cndmask_b32_e64 v6, v18, v6, s0
	v_cndmask_b32_e32 v9, v17, v13, vcc_lo
	v_add_co_u32 v13, vcc_lo, v3, 1
	v_add_co_ci_u32_e32 v17, vcc_lo, 0, v8, vcc_lo
	v_cmp_ne_u32_e32 vcc_lo, 0, v9
	s_delay_alu instid0(VALU_DEP_2) | instskip(NEXT) | instid1(VALU_DEP_4)
	v_cndmask_b32_e32 v7, v17, v11, vcc_lo
	v_cndmask_b32_e32 v9, v13, v10, vcc_lo
	v_cmp_ne_u32_e32 vcc_lo, 0, v6
	v_xor_b32_e32 v10, s44, v12
	s_delay_alu instid0(VALU_DEP_3) | instskip(NEXT) | instid1(VALU_DEP_1)
	v_dual_cndmask_b32 v3, v3, v9 :: v_dual_cndmask_b32 v6, v8, v7
	v_xor_b32_e32 v3, v3, v10
	s_delay_alu instid0(VALU_DEP_2) | instskip(NEXT) | instid1(VALU_DEP_2)
	v_xor_b32_e32 v7, v6, v10
	v_sub_co_u32 v6, vcc_lo, v3, v10
	s_delay_alu instid0(VALU_DEP_2)
	v_sub_co_ci_u32_e32 v7, vcc_lo, v7, v10, vcc_lo
.LBB18_5:                               ;   in Loop: Header=BB18_3 Depth=1
	s_and_not1_saveexec_b32 s0, s54
	s_cbranch_execz .LBB18_7
; %bb.6:                                ;   in Loop: Header=BB18_3 Depth=1
	s_sub_i32 s44, 0, s28
	s_delay_alu instid0(SALU_CYCLE_1) | instskip(NEXT) | instid1(VALU_DEP_1)
	v_mul_lo_u32 v3, s44, v14
	v_mul_hi_u32 v3, v14, v3
	s_delay_alu instid0(VALU_DEP_1) | instskip(NEXT) | instid1(VALU_DEP_1)
	v_add_nc_u32_e32 v3, v14, v3
	v_mul_hi_u32 v3, v16, v3
	s_delay_alu instid0(VALU_DEP_1) | instskip(NEXT) | instid1(VALU_DEP_1)
	v_mul_lo_u32 v6, v3, s28
	v_sub_nc_u32_e32 v6, v16, v6
	s_delay_alu instid0(VALU_DEP_1) | instskip(SKIP_1) | instid1(VALU_DEP_2)
	v_subrev_nc_u32_e32 v8, s28, v6
	v_cmp_le_u32_e32 vcc_lo, s28, v6
	v_dual_cndmask_b32 v6, v6, v8 :: v_dual_add_nc_u32 v7, 1, v3
	s_delay_alu instid0(VALU_DEP_1) | instskip(NEXT) | instid1(VALU_DEP_2)
	v_cndmask_b32_e32 v3, v3, v7, vcc_lo
	v_cmp_le_u32_e32 vcc_lo, s28, v6
	s_delay_alu instid0(VALU_DEP_2) | instskip(NEXT) | instid1(VALU_DEP_1)
	v_add_nc_u32_e32 v7, 1, v3
	v_dual_cndmask_b32 v6, v3, v7 :: v_dual_mov_b32 v7, v2
.LBB18_7:                               ;   in Loop: Header=BB18_3 Depth=1
	s_or_b32 exec_lo, exec_lo, s0
	s_delay_alu instid0(VALU_DEP_1) | instskip(SKIP_1) | instid1(VALU_DEP_1)
	v_or_b32_e32 v3, s31, v7
                                        ; implicit-def: $vgpr8_vgpr9
	s_mov_b32 s0, exec_lo
	v_cmpx_ne_u64_e32 0, v[2:3]
	s_xor_b32 s46, exec_lo, s0
	s_cbranch_execz .LBB18_9
; %bb.8:                                ;   in Loop: Header=BB18_3 Depth=1
	s_ashr_i32 s44, s31, 31
	s_delay_alu instid0(SALU_CYCLE_1) | instskip(SKIP_2) | instid1(SALU_CYCLE_1)
	s_add_u32 s54, s30, s44
	s_mov_b32 s45, s44
	s_addc_u32 s55, s31, s44
	s_xor_b64 s[44:45], s[54:55], s[44:45]
	s_delay_alu instid0(SALU_CYCLE_1) | instskip(SKIP_3) | instid1(VALU_DEP_1)
	v_cvt_f32_u32_e32 v3, s44
	v_cvt_f32_u32_e32 v8, s45
	s_sub_u32 s0, 0, s44
	s_subb_u32 s47, 0, s45
	v_fmac_f32_e32 v3, 0x4f800000, v8
	s_delay_alu instid0(VALU_DEP_1) | instskip(SKIP_2) | instid1(VALU_DEP_1)
	v_rcp_f32_e32 v3, v3
	s_waitcnt_depctr 0xfff
	v_mul_f32_e32 v3, 0x5f7ffffc, v3
	v_mul_f32_e32 v8, 0x2f800000, v3
	s_delay_alu instid0(VALU_DEP_1) | instskip(NEXT) | instid1(VALU_DEP_1)
	v_trunc_f32_e32 v8, v8
	v_fmac_f32_e32 v3, 0xcf800000, v8
	v_cvt_u32_f32_e32 v8, v8
	s_delay_alu instid0(VALU_DEP_2) | instskip(NEXT) | instid1(VALU_DEP_2)
	v_cvt_u32_f32_e32 v3, v3
	v_mul_lo_u32 v9, s0, v8
	s_delay_alu instid0(VALU_DEP_2) | instskip(SKIP_1) | instid1(VALU_DEP_2)
	v_mul_hi_u32 v10, s0, v3
	v_mul_lo_u32 v11, s47, v3
	v_add_nc_u32_e32 v9, v10, v9
	v_mul_lo_u32 v10, s0, v3
	s_delay_alu instid0(VALU_DEP_2) | instskip(NEXT) | instid1(VALU_DEP_2)
	v_add_nc_u32_e32 v9, v9, v11
	v_mul_hi_u32 v11, v3, v10
	s_delay_alu instid0(VALU_DEP_2)
	v_mul_lo_u32 v12, v3, v9
	v_mul_hi_u32 v13, v3, v9
	v_mul_hi_u32 v17, v8, v10
	v_mul_lo_u32 v10, v8, v10
	v_mul_hi_u32 v18, v8, v9
	v_mul_lo_u32 v9, v8, v9
	v_add_co_u32 v11, vcc_lo, v11, v12
	v_add_co_ci_u32_e32 v12, vcc_lo, 0, v13, vcc_lo
	s_delay_alu instid0(VALU_DEP_2) | instskip(NEXT) | instid1(VALU_DEP_2)
	v_add_co_u32 v10, vcc_lo, v11, v10
	v_add_co_ci_u32_e32 v10, vcc_lo, v12, v17, vcc_lo
	v_add_co_ci_u32_e32 v11, vcc_lo, 0, v18, vcc_lo
	v_ashrrev_i32_e32 v17, 31, v7
	s_delay_alu instid0(VALU_DEP_3) | instskip(NEXT) | instid1(VALU_DEP_3)
	v_add_co_u32 v9, vcc_lo, v10, v9
	v_add_co_ci_u32_e32 v10, vcc_lo, 0, v11, vcc_lo
	s_delay_alu instid0(VALU_DEP_2) | instskip(NEXT) | instid1(VALU_DEP_2)
	v_add_co_u32 v3, vcc_lo, v3, v9
	v_add_co_ci_u32_e32 v8, vcc_lo, v8, v10, vcc_lo
	s_delay_alu instid0(VALU_DEP_2) | instskip(SKIP_1) | instid1(VALU_DEP_3)
	v_mul_hi_u32 v9, s0, v3
	v_mul_lo_u32 v11, s47, v3
	v_mul_lo_u32 v10, s0, v8
	s_delay_alu instid0(VALU_DEP_1) | instskip(SKIP_1) | instid1(VALU_DEP_2)
	v_add_nc_u32_e32 v9, v9, v10
	v_mul_lo_u32 v10, s0, v3
	v_add_nc_u32_e32 v9, v9, v11
	s_delay_alu instid0(VALU_DEP_2) | instskip(NEXT) | instid1(VALU_DEP_2)
	v_mul_hi_u32 v11, v3, v10
	v_mul_lo_u32 v12, v3, v9
	v_mul_hi_u32 v13, v3, v9
	v_mul_hi_u32 v18, v8, v10
	v_mul_lo_u32 v10, v8, v10
	v_mul_hi_u32 v19, v8, v9
	v_mul_lo_u32 v9, v8, v9
	v_add_co_u32 v11, vcc_lo, v11, v12
	v_add_co_ci_u32_e32 v12, vcc_lo, 0, v13, vcc_lo
	s_delay_alu instid0(VALU_DEP_2) | instskip(NEXT) | instid1(VALU_DEP_2)
	v_add_co_u32 v10, vcc_lo, v11, v10
	v_add_co_ci_u32_e32 v10, vcc_lo, v12, v18, vcc_lo
	v_add_co_ci_u32_e32 v11, vcc_lo, 0, v19, vcc_lo
	v_add_co_u32 v12, vcc_lo, v6, v17
	v_add_co_ci_u32_e32 v13, vcc_lo, v7, v17, vcc_lo
	s_delay_alu instid0(VALU_DEP_4) | instskip(NEXT) | instid1(VALU_DEP_4)
	v_add_co_u32 v9, vcc_lo, v10, v9
	v_add_co_ci_u32_e32 v10, vcc_lo, 0, v11, vcc_lo
	s_delay_alu instid0(VALU_DEP_4) | instskip(NEXT) | instid1(VALU_DEP_3)
	v_xor_b32_e32 v18, v12, v17
	v_add_co_u32 v3, vcc_lo, v3, v9
	s_delay_alu instid0(VALU_DEP_3) | instskip(SKIP_1) | instid1(VALU_DEP_3)
	v_add_co_ci_u32_e32 v19, vcc_lo, v8, v10, vcc_lo
	v_xor_b32_e32 v20, v13, v17
	v_mul_hi_u32 v21, v18, v3
	s_delay_alu instid0(VALU_DEP_3) | instskip(NEXT) | instid1(VALU_DEP_3)
	v_mad_u64_u32 v[8:9], null, v18, v19, 0
	v_mad_u64_u32 v[10:11], null, v20, v3, 0
	;; [unrolled: 1-line block ×3, first 2 shown]
	s_delay_alu instid0(VALU_DEP_3) | instskip(NEXT) | instid1(VALU_DEP_4)
	v_add_co_u32 v3, vcc_lo, v21, v8
	v_add_co_ci_u32_e32 v8, vcc_lo, 0, v9, vcc_lo
	s_delay_alu instid0(VALU_DEP_2) | instskip(NEXT) | instid1(VALU_DEP_2)
	v_add_co_u32 v3, vcc_lo, v3, v10
	v_add_co_ci_u32_e32 v3, vcc_lo, v8, v11, vcc_lo
	v_add_co_ci_u32_e32 v8, vcc_lo, 0, v13, vcc_lo
	s_delay_alu instid0(VALU_DEP_2) | instskip(NEXT) | instid1(VALU_DEP_2)
	v_add_co_u32 v3, vcc_lo, v3, v12
	v_add_co_ci_u32_e32 v10, vcc_lo, 0, v8, vcc_lo
	s_delay_alu instid0(VALU_DEP_2) | instskip(SKIP_1) | instid1(VALU_DEP_3)
	v_mul_lo_u32 v11, s45, v3
	v_mad_u64_u32 v[8:9], null, s44, v3, 0
	v_mul_lo_u32 v3, s44, v10
	s_delay_alu instid0(VALU_DEP_2) | instskip(NEXT) | instid1(VALU_DEP_2)
	v_sub_co_u32 v8, vcc_lo, v18, v8
	v_add3_u32 v3, v9, v3, v11
	s_delay_alu instid0(VALU_DEP_1) | instskip(NEXT) | instid1(VALU_DEP_1)
	v_sub_nc_u32_e32 v9, v20, v3
	v_subrev_co_ci_u32_e64 v9, s0, s45, v9, vcc_lo
	v_sub_co_ci_u32_e32 v3, vcc_lo, v20, v3, vcc_lo
	v_sub_co_u32 v10, vcc_lo, v8, s44
	s_delay_alu instid0(VALU_DEP_1) | instskip(SKIP_3) | instid1(VALU_DEP_3)
	v_subrev_co_ci_u32_e64 v11, s0, 0, v9, vcc_lo
	v_cmp_le_u32_e64 s0, s44, v8
	v_subrev_co_ci_u32_e32 v9, vcc_lo, s45, v9, vcc_lo
	v_cmp_le_u32_e32 vcc_lo, s45, v3
	v_cndmask_b32_e64 v12, 0, -1, s0
	v_cmp_le_u32_e64 s0, s44, v10
	v_cndmask_b32_e64 v19, 0, -1, vcc_lo
	v_cmp_eq_u32_e32 vcc_lo, s45, v11
	s_delay_alu instid0(VALU_DEP_3) | instskip(SKIP_1) | instid1(VALU_DEP_1)
	v_cndmask_b32_e64 v13, 0, -1, s0
	v_cmp_le_u32_e64 s0, s45, v11
	v_cndmask_b32_e64 v18, 0, -1, s0
	v_cmp_eq_u32_e64 s0, s45, v3
	s_delay_alu instid0(VALU_DEP_2) | instskip(SKIP_2) | instid1(VALU_DEP_3)
	v_cndmask_b32_e32 v13, v18, v13, vcc_lo
	v_sub_co_u32 v18, vcc_lo, v10, s44
	v_subrev_co_ci_u32_e32 v9, vcc_lo, 0, v9, vcc_lo
	v_cmp_ne_u32_e32 vcc_lo, 0, v13
	v_cndmask_b32_e64 v12, v19, v12, s0
	s_delay_alu instid0(VALU_DEP_3) | instskip(NEXT) | instid1(VALU_DEP_2)
	v_dual_cndmask_b32 v9, v11, v9 :: v_dual_cndmask_b32 v10, v10, v18
	v_cmp_ne_u32_e32 vcc_lo, 0, v12
	s_delay_alu instid0(VALU_DEP_2) | instskip(NEXT) | instid1(VALU_DEP_1)
	v_dual_cndmask_b32 v8, v8, v10 :: v_dual_cndmask_b32 v3, v3, v9
	v_xor_b32_e32 v8, v8, v17
	s_delay_alu instid0(VALU_DEP_2) | instskip(NEXT) | instid1(VALU_DEP_2)
	v_xor_b32_e32 v3, v3, v17
	v_sub_co_u32 v8, vcc_lo, v8, v17
	s_delay_alu instid0(VALU_DEP_2)
	v_sub_co_ci_u32_e32 v9, vcc_lo, v3, v17, vcc_lo
.LBB18_9:                               ;   in Loop: Header=BB18_3 Depth=1
	s_and_not1_saveexec_b32 s0, s46
	s_cbranch_execz .LBB18_11
; %bb.10:                               ;   in Loop: Header=BB18_3 Depth=1
	v_cvt_f32_u32_e32 v3, s30
	s_sub_i32 s44, 0, s30
	v_mov_b32_e32 v9, v2
	s_delay_alu instid0(VALU_DEP_2) | instskip(SKIP_2) | instid1(VALU_DEP_1)
	v_rcp_iflag_f32_e32 v3, v3
	s_waitcnt_depctr 0xfff
	v_mul_f32_e32 v3, 0x4f7ffffe, v3
	v_cvt_u32_f32_e32 v3, v3
	s_delay_alu instid0(VALU_DEP_1) | instskip(NEXT) | instid1(VALU_DEP_1)
	v_mul_lo_u32 v8, s44, v3
	v_mul_hi_u32 v8, v3, v8
	s_delay_alu instid0(VALU_DEP_1) | instskip(NEXT) | instid1(VALU_DEP_1)
	v_add_nc_u32_e32 v3, v3, v8
	v_mul_hi_u32 v3, v6, v3
	s_delay_alu instid0(VALU_DEP_1) | instskip(NEXT) | instid1(VALU_DEP_1)
	v_mul_lo_u32 v3, v3, s30
	v_sub_nc_u32_e32 v3, v6, v3
	s_delay_alu instid0(VALU_DEP_1) | instskip(SKIP_1) | instid1(VALU_DEP_2)
	v_subrev_nc_u32_e32 v8, s30, v3
	v_cmp_le_u32_e32 vcc_lo, s30, v3
	v_cndmask_b32_e32 v3, v3, v8, vcc_lo
	s_delay_alu instid0(VALU_DEP_1) | instskip(SKIP_1) | instid1(VALU_DEP_2)
	v_subrev_nc_u32_e32 v8, s30, v3
	v_cmp_le_u32_e32 vcc_lo, s30, v3
	v_cndmask_b32_e32 v8, v3, v8, vcc_lo
.LBB18_11:                              ;   in Loop: Header=BB18_3 Depth=1
	s_or_b32 exec_lo, exec_lo, s0
	v_or_b32_e32 v3, s1, v15
                                        ; implicit-def: $vgpr12_vgpr13
	s_mov_b32 s0, exec_lo
	s_delay_alu instid0(VALU_DEP_1)
	v_cmpx_ne_u64_e32 0, v[2:3]
	s_xor_b32 s54, exec_lo, s0
	s_cbranch_execz .LBB18_13
; %bb.12:                               ;   in Loop: Header=BB18_3 Depth=1
	s_ashr_i32 s44, s1, 31
	s_delay_alu instid0(SALU_CYCLE_1) | instskip(SKIP_2) | instid1(SALU_CYCLE_1)
	s_add_u32 s46, s33, s44
	s_mov_b32 s45, s44
	s_addc_u32 s47, s1, s44
	s_xor_b64 s[46:47], s[46:47], s[44:45]
	s_delay_alu instid0(SALU_CYCLE_1) | instskip(SKIP_3) | instid1(VALU_DEP_1)
	v_cvt_f32_u32_e32 v3, s46
	v_cvt_f32_u32_e32 v10, s47
	s_sub_u32 s0, 0, s46
	s_subb_u32 s45, 0, s47
	v_fmac_f32_e32 v3, 0x4f800000, v10
	s_delay_alu instid0(VALU_DEP_1) | instskip(SKIP_2) | instid1(VALU_DEP_1)
	v_rcp_f32_e32 v3, v3
	s_waitcnt_depctr 0xfff
	v_mul_f32_e32 v3, 0x5f7ffffc, v3
	v_mul_f32_e32 v10, 0x2f800000, v3
	s_delay_alu instid0(VALU_DEP_1) | instskip(NEXT) | instid1(VALU_DEP_1)
	v_trunc_f32_e32 v10, v10
	v_fmac_f32_e32 v3, 0xcf800000, v10
	v_cvt_u32_f32_e32 v10, v10
	s_delay_alu instid0(VALU_DEP_2) | instskip(NEXT) | instid1(VALU_DEP_2)
	v_cvt_u32_f32_e32 v3, v3
	v_mul_lo_u32 v11, s0, v10
	s_delay_alu instid0(VALU_DEP_2) | instskip(SKIP_1) | instid1(VALU_DEP_2)
	v_mul_hi_u32 v12, s0, v3
	v_mul_lo_u32 v13, s45, v3
	v_add_nc_u32_e32 v11, v12, v11
	v_mul_lo_u32 v12, s0, v3
	s_delay_alu instid0(VALU_DEP_2) | instskip(NEXT) | instid1(VALU_DEP_2)
	v_add_nc_u32_e32 v11, v11, v13
	v_mul_hi_u32 v13, v3, v12
	s_delay_alu instid0(VALU_DEP_2)
	v_mul_lo_u32 v17, v3, v11
	v_mul_hi_u32 v18, v3, v11
	v_mul_hi_u32 v19, v10, v12
	v_mul_lo_u32 v12, v10, v12
	v_mul_hi_u32 v20, v10, v11
	v_mul_lo_u32 v11, v10, v11
	v_add_co_u32 v13, vcc_lo, v13, v17
	v_add_co_ci_u32_e32 v17, vcc_lo, 0, v18, vcc_lo
	s_delay_alu instid0(VALU_DEP_2) | instskip(NEXT) | instid1(VALU_DEP_2)
	v_add_co_u32 v12, vcc_lo, v13, v12
	v_add_co_ci_u32_e32 v12, vcc_lo, v17, v19, vcc_lo
	v_add_co_ci_u32_e32 v13, vcc_lo, 0, v20, vcc_lo
	v_ashrrev_i32_e32 v19, 31, v15
	s_delay_alu instid0(VALU_DEP_3) | instskip(NEXT) | instid1(VALU_DEP_3)
	v_add_co_u32 v11, vcc_lo, v12, v11
	v_add_co_ci_u32_e32 v12, vcc_lo, 0, v13, vcc_lo
	s_delay_alu instid0(VALU_DEP_2) | instskip(NEXT) | instid1(VALU_DEP_2)
	v_add_co_u32 v3, vcc_lo, v3, v11
	v_add_co_ci_u32_e32 v10, vcc_lo, v10, v12, vcc_lo
	s_delay_alu instid0(VALU_DEP_2) | instskip(SKIP_1) | instid1(VALU_DEP_3)
	v_mul_hi_u32 v11, s0, v3
	v_mul_lo_u32 v13, s45, v3
	v_mul_lo_u32 v12, s0, v10
	s_delay_alu instid0(VALU_DEP_1) | instskip(SKIP_1) | instid1(VALU_DEP_2)
	v_add_nc_u32_e32 v11, v11, v12
	v_mul_lo_u32 v12, s0, v3
	v_add_nc_u32_e32 v11, v11, v13
	s_delay_alu instid0(VALU_DEP_2) | instskip(NEXT) | instid1(VALU_DEP_2)
	v_mul_hi_u32 v13, v3, v12
	v_mul_lo_u32 v17, v3, v11
	v_mul_hi_u32 v18, v3, v11
	v_mul_hi_u32 v20, v10, v12
	v_mul_lo_u32 v12, v10, v12
	v_mul_hi_u32 v21, v10, v11
	v_mul_lo_u32 v11, v10, v11
	v_add_co_u32 v13, vcc_lo, v13, v17
	v_add_co_ci_u32_e32 v17, vcc_lo, 0, v18, vcc_lo
	s_delay_alu instid0(VALU_DEP_2) | instskip(NEXT) | instid1(VALU_DEP_2)
	v_add_co_u32 v12, vcc_lo, v13, v12
	v_add_co_ci_u32_e32 v12, vcc_lo, v17, v20, vcc_lo
	v_add_co_ci_u32_e32 v13, vcc_lo, 0, v21, vcc_lo
	v_add_co_u32 v17, vcc_lo, v16, v19
	v_add_co_ci_u32_e32 v18, vcc_lo, v15, v19, vcc_lo
	s_delay_alu instid0(VALU_DEP_4) | instskip(NEXT) | instid1(VALU_DEP_4)
	v_add_co_u32 v11, vcc_lo, v12, v11
	v_add_co_ci_u32_e32 v12, vcc_lo, 0, v13, vcc_lo
	s_delay_alu instid0(VALU_DEP_4) | instskip(NEXT) | instid1(VALU_DEP_3)
	v_xor_b32_e32 v20, v17, v19
	v_add_co_u32 v3, vcc_lo, v3, v11
	s_delay_alu instid0(VALU_DEP_3) | instskip(SKIP_1) | instid1(VALU_DEP_3)
	v_add_co_ci_u32_e32 v21, vcc_lo, v10, v12, vcc_lo
	v_xor_b32_e32 v22, v18, v19
	v_mul_hi_u32 v23, v20, v3
	s_delay_alu instid0(VALU_DEP_3) | instskip(NEXT) | instid1(VALU_DEP_3)
	v_mad_u64_u32 v[10:11], null, v20, v21, 0
	v_mad_u64_u32 v[12:13], null, v22, v3, 0
	;; [unrolled: 1-line block ×3, first 2 shown]
	s_delay_alu instid0(VALU_DEP_3) | instskip(NEXT) | instid1(VALU_DEP_4)
	v_add_co_u32 v3, vcc_lo, v23, v10
	v_add_co_ci_u32_e32 v10, vcc_lo, 0, v11, vcc_lo
	s_delay_alu instid0(VALU_DEP_2) | instskip(NEXT) | instid1(VALU_DEP_2)
	v_add_co_u32 v3, vcc_lo, v3, v12
	v_add_co_ci_u32_e32 v3, vcc_lo, v10, v13, vcc_lo
	v_add_co_ci_u32_e32 v10, vcc_lo, 0, v18, vcc_lo
	s_delay_alu instid0(VALU_DEP_2) | instskip(NEXT) | instid1(VALU_DEP_2)
	v_add_co_u32 v3, vcc_lo, v3, v17
	v_add_co_ci_u32_e32 v12, vcc_lo, 0, v10, vcc_lo
	s_delay_alu instid0(VALU_DEP_2) | instskip(SKIP_1) | instid1(VALU_DEP_3)
	v_mul_lo_u32 v13, s47, v3
	v_mad_u64_u32 v[10:11], null, s46, v3, 0
	v_mul_lo_u32 v17, s46, v12
	s_delay_alu instid0(VALU_DEP_2) | instskip(NEXT) | instid1(VALU_DEP_2)
	v_sub_co_u32 v10, vcc_lo, v20, v10
	v_add3_u32 v11, v11, v17, v13
	s_delay_alu instid0(VALU_DEP_1) | instskip(NEXT) | instid1(VALU_DEP_1)
	v_sub_nc_u32_e32 v13, v22, v11
	v_subrev_co_ci_u32_e64 v13, s0, s47, v13, vcc_lo
	v_add_co_u32 v17, s0, v3, 2
	s_delay_alu instid0(VALU_DEP_1) | instskip(SKIP_3) | instid1(VALU_DEP_3)
	v_add_co_ci_u32_e64 v18, s0, 0, v12, s0
	v_sub_co_u32 v20, s0, v10, s46
	v_sub_co_ci_u32_e32 v11, vcc_lo, v22, v11, vcc_lo
	v_subrev_co_ci_u32_e64 v13, s0, 0, v13, s0
	v_cmp_le_u32_e32 vcc_lo, s46, v20
	s_delay_alu instid0(VALU_DEP_3) | instskip(SKIP_1) | instid1(VALU_DEP_4)
	v_cmp_eq_u32_e64 s0, s47, v11
	v_cndmask_b32_e64 v20, 0, -1, vcc_lo
	v_cmp_le_u32_e32 vcc_lo, s47, v13
	v_cndmask_b32_e64 v21, 0, -1, vcc_lo
	v_cmp_le_u32_e32 vcc_lo, s46, v10
	;; [unrolled: 2-line block ×3, first 2 shown]
	v_cndmask_b32_e64 v22, 0, -1, vcc_lo
	v_cmp_eq_u32_e32 vcc_lo, s47, v13
	s_delay_alu instid0(VALU_DEP_2) | instskip(SKIP_3) | instid1(VALU_DEP_3)
	v_cndmask_b32_e64 v10, v22, v10, s0
	v_cndmask_b32_e32 v13, v21, v20, vcc_lo
	v_add_co_u32 v20, vcc_lo, v3, 1
	v_add_co_ci_u32_e32 v21, vcc_lo, 0, v12, vcc_lo
	v_cmp_ne_u32_e32 vcc_lo, 0, v13
	s_delay_alu instid0(VALU_DEP_2) | instskip(NEXT) | instid1(VALU_DEP_4)
	v_cndmask_b32_e32 v11, v21, v18, vcc_lo
	v_cndmask_b32_e32 v13, v20, v17, vcc_lo
	v_cmp_ne_u32_e32 vcc_lo, 0, v10
	v_xor_b32_e32 v10, s44, v19
	s_delay_alu instid0(VALU_DEP_3) | instskip(SKIP_1) | instid1(VALU_DEP_2)
	v_cndmask_b32_e32 v3, v3, v13, vcc_lo
	v_cndmask_b32_e32 v11, v12, v11, vcc_lo
	v_xor_b32_e32 v3, v3, v10
	s_delay_alu instid0(VALU_DEP_2) | instskip(NEXT) | instid1(VALU_DEP_2)
	v_xor_b32_e32 v11, v11, v10
	v_sub_co_u32 v12, vcc_lo, v3, v10
	s_delay_alu instid0(VALU_DEP_2)
	v_sub_co_ci_u32_e32 v13, vcc_lo, v11, v10, vcc_lo
.LBB18_13:                              ;   in Loop: Header=BB18_3 Depth=1
	s_and_not1_saveexec_b32 s0, s54
	s_cbranch_execz .LBB18_15
; %bb.14:                               ;   in Loop: Header=BB18_3 Depth=1
	v_cvt_f32_u32_e32 v3, s33
	s_sub_i32 s44, 0, s33
	v_mov_b32_e32 v13, v2
	s_delay_alu instid0(VALU_DEP_2) | instskip(SKIP_2) | instid1(VALU_DEP_1)
	v_rcp_iflag_f32_e32 v3, v3
	s_waitcnt_depctr 0xfff
	v_mul_f32_e32 v3, 0x4f7ffffe, v3
	v_cvt_u32_f32_e32 v3, v3
	s_delay_alu instid0(VALU_DEP_1) | instskip(NEXT) | instid1(VALU_DEP_1)
	v_mul_lo_u32 v10, s44, v3
	v_mul_hi_u32 v10, v3, v10
	s_delay_alu instid0(VALU_DEP_1) | instskip(NEXT) | instid1(VALU_DEP_1)
	v_add_nc_u32_e32 v3, v3, v10
	v_mul_hi_u32 v3, v1, v3
	s_delay_alu instid0(VALU_DEP_1) | instskip(SKIP_1) | instid1(VALU_DEP_2)
	v_mul_lo_u32 v10, v3, s33
	v_add_nc_u32_e32 v11, 1, v3
	v_sub_nc_u32_e32 v10, v1, v10
	s_delay_alu instid0(VALU_DEP_1) | instskip(SKIP_1) | instid1(VALU_DEP_2)
	v_subrev_nc_u32_e32 v12, s33, v10
	v_cmp_le_u32_e32 vcc_lo, s33, v10
	v_dual_cndmask_b32 v10, v10, v12 :: v_dual_cndmask_b32 v3, v3, v11
	s_delay_alu instid0(VALU_DEP_1) | instskip(NEXT) | instid1(VALU_DEP_2)
	v_cmp_le_u32_e32 vcc_lo, s33, v10
	v_add_nc_u32_e32 v11, 1, v3
	s_delay_alu instid0(VALU_DEP_1)
	v_cndmask_b32_e32 v12, v3, v11, vcc_lo
.LBB18_15:                              ;   in Loop: Header=BB18_3 Depth=1
	s_or_b32 exec_lo, exec_lo, s0
	s_delay_alu instid0(VALU_DEP_1) | instskip(SKIP_1) | instid1(VALU_DEP_1)
	v_or_b32_e32 v3, s41, v13
                                        ; implicit-def: $vgpr10_vgpr11
	s_mov_b32 s0, exec_lo
	v_cmpx_ne_u64_e32 0, v[2:3]
	s_xor_b32 s46, exec_lo, s0
	s_cbranch_execz .LBB18_17
; %bb.16:                               ;   in Loop: Header=BB18_3 Depth=1
	s_ashr_i32 s44, s41, 31
	s_delay_alu instid0(SALU_CYCLE_1) | instskip(SKIP_2) | instid1(SALU_CYCLE_1)
	s_add_u32 s54, s40, s44
	s_mov_b32 s45, s44
	s_addc_u32 s55, s41, s44
	s_xor_b64 s[44:45], s[54:55], s[44:45]
	s_delay_alu instid0(SALU_CYCLE_1) | instskip(SKIP_3) | instid1(VALU_DEP_1)
	v_cvt_f32_u32_e32 v3, s44
	v_cvt_f32_u32_e32 v10, s45
	s_sub_u32 s0, 0, s44
	s_subb_u32 s47, 0, s45
	v_fmac_f32_e32 v3, 0x4f800000, v10
	s_delay_alu instid0(VALU_DEP_1) | instskip(SKIP_2) | instid1(VALU_DEP_1)
	v_rcp_f32_e32 v3, v3
	s_waitcnt_depctr 0xfff
	v_mul_f32_e32 v3, 0x5f7ffffc, v3
	v_mul_f32_e32 v10, 0x2f800000, v3
	s_delay_alu instid0(VALU_DEP_1) | instskip(NEXT) | instid1(VALU_DEP_1)
	v_trunc_f32_e32 v10, v10
	v_fmac_f32_e32 v3, 0xcf800000, v10
	v_cvt_u32_f32_e32 v10, v10
	s_delay_alu instid0(VALU_DEP_2) | instskip(NEXT) | instid1(VALU_DEP_2)
	v_cvt_u32_f32_e32 v3, v3
	v_mul_lo_u32 v11, s0, v10
	s_delay_alu instid0(VALU_DEP_2) | instskip(SKIP_1) | instid1(VALU_DEP_2)
	v_mul_hi_u32 v17, s0, v3
	v_mul_lo_u32 v18, s47, v3
	v_add_nc_u32_e32 v11, v17, v11
	v_mul_lo_u32 v17, s0, v3
	s_delay_alu instid0(VALU_DEP_2) | instskip(NEXT) | instid1(VALU_DEP_2)
	v_add_nc_u32_e32 v11, v11, v18
	v_mul_hi_u32 v18, v3, v17
	s_delay_alu instid0(VALU_DEP_2)
	v_mul_lo_u32 v19, v3, v11
	v_mul_hi_u32 v20, v3, v11
	v_mul_hi_u32 v21, v10, v17
	v_mul_lo_u32 v17, v10, v17
	v_mul_hi_u32 v22, v10, v11
	v_mul_lo_u32 v11, v10, v11
	v_add_co_u32 v18, vcc_lo, v18, v19
	v_add_co_ci_u32_e32 v19, vcc_lo, 0, v20, vcc_lo
	s_delay_alu instid0(VALU_DEP_2) | instskip(NEXT) | instid1(VALU_DEP_2)
	v_add_co_u32 v17, vcc_lo, v18, v17
	v_add_co_ci_u32_e32 v17, vcc_lo, v19, v21, vcc_lo
	v_add_co_ci_u32_e32 v18, vcc_lo, 0, v22, vcc_lo
	v_ashrrev_i32_e32 v21, 31, v13
	s_delay_alu instid0(VALU_DEP_3) | instskip(NEXT) | instid1(VALU_DEP_3)
	v_add_co_u32 v11, vcc_lo, v17, v11
	v_add_co_ci_u32_e32 v17, vcc_lo, 0, v18, vcc_lo
	s_delay_alu instid0(VALU_DEP_2) | instskip(NEXT) | instid1(VALU_DEP_2)
	v_add_co_u32 v3, vcc_lo, v3, v11
	v_add_co_ci_u32_e32 v10, vcc_lo, v10, v17, vcc_lo
	s_delay_alu instid0(VALU_DEP_2) | instskip(SKIP_1) | instid1(VALU_DEP_3)
	v_mul_hi_u32 v11, s0, v3
	v_mul_lo_u32 v18, s47, v3
	v_mul_lo_u32 v17, s0, v10
	s_delay_alu instid0(VALU_DEP_1) | instskip(SKIP_1) | instid1(VALU_DEP_2)
	v_add_nc_u32_e32 v11, v11, v17
	v_mul_lo_u32 v17, s0, v3
	v_add_nc_u32_e32 v11, v11, v18
	s_delay_alu instid0(VALU_DEP_2) | instskip(NEXT) | instid1(VALU_DEP_2)
	v_mul_hi_u32 v18, v3, v17
	v_mul_lo_u32 v19, v3, v11
	v_mul_hi_u32 v20, v3, v11
	v_mul_hi_u32 v22, v10, v17
	v_mul_lo_u32 v17, v10, v17
	v_mul_hi_u32 v23, v10, v11
	v_mul_lo_u32 v11, v10, v11
	v_add_co_u32 v18, vcc_lo, v18, v19
	v_add_co_ci_u32_e32 v19, vcc_lo, 0, v20, vcc_lo
	s_delay_alu instid0(VALU_DEP_2) | instskip(NEXT) | instid1(VALU_DEP_2)
	v_add_co_u32 v17, vcc_lo, v18, v17
	v_add_co_ci_u32_e32 v17, vcc_lo, v19, v22, vcc_lo
	v_add_co_ci_u32_e32 v18, vcc_lo, 0, v23, vcc_lo
	v_add_co_u32 v12, vcc_lo, v12, v21
	v_add_co_ci_u32_e32 v13, vcc_lo, v13, v21, vcc_lo
	s_delay_alu instid0(VALU_DEP_4) | instskip(NEXT) | instid1(VALU_DEP_4)
	v_add_co_u32 v11, vcc_lo, v17, v11
	v_add_co_ci_u32_e32 v17, vcc_lo, 0, v18, vcc_lo
	s_delay_alu instid0(VALU_DEP_4) | instskip(NEXT) | instid1(VALU_DEP_3)
	v_xor_b32_e32 v19, v12, v21
	v_add_co_u32 v3, vcc_lo, v3, v11
	s_delay_alu instid0(VALU_DEP_3) | instskip(SKIP_1) | instid1(VALU_DEP_3)
	v_add_co_ci_u32_e32 v20, vcc_lo, v10, v17, vcc_lo
	v_xor_b32_e32 v22, v13, v21
	v_mul_hi_u32 v23, v19, v3
	s_delay_alu instid0(VALU_DEP_3) | instskip(NEXT) | instid1(VALU_DEP_3)
	v_mad_u64_u32 v[10:11], null, v19, v20, 0
	v_mad_u64_u32 v[12:13], null, v22, v3, 0
	;; [unrolled: 1-line block ×3, first 2 shown]
	s_delay_alu instid0(VALU_DEP_3) | instskip(NEXT) | instid1(VALU_DEP_4)
	v_add_co_u32 v3, vcc_lo, v23, v10
	v_add_co_ci_u32_e32 v10, vcc_lo, 0, v11, vcc_lo
	s_delay_alu instid0(VALU_DEP_2) | instskip(NEXT) | instid1(VALU_DEP_2)
	v_add_co_u32 v3, vcc_lo, v3, v12
	v_add_co_ci_u32_e32 v3, vcc_lo, v10, v13, vcc_lo
	v_add_co_ci_u32_e32 v10, vcc_lo, 0, v18, vcc_lo
	s_delay_alu instid0(VALU_DEP_2) | instskip(NEXT) | instid1(VALU_DEP_2)
	v_add_co_u32 v3, vcc_lo, v3, v17
	v_add_co_ci_u32_e32 v12, vcc_lo, 0, v10, vcc_lo
	s_delay_alu instid0(VALU_DEP_2) | instskip(SKIP_1) | instid1(VALU_DEP_3)
	v_mul_lo_u32 v13, s45, v3
	v_mad_u64_u32 v[10:11], null, s44, v3, 0
	v_mul_lo_u32 v3, s44, v12
	s_delay_alu instid0(VALU_DEP_2) | instskip(NEXT) | instid1(VALU_DEP_2)
	v_sub_co_u32 v10, vcc_lo, v19, v10
	v_add3_u32 v3, v11, v3, v13
	s_delay_alu instid0(VALU_DEP_1) | instskip(NEXT) | instid1(VALU_DEP_1)
	v_sub_nc_u32_e32 v11, v22, v3
	v_subrev_co_ci_u32_e64 v11, s0, s45, v11, vcc_lo
	v_sub_co_ci_u32_e32 v3, vcc_lo, v22, v3, vcc_lo
	v_sub_co_u32 v12, vcc_lo, v10, s44
	s_delay_alu instid0(VALU_DEP_1) | instskip(SKIP_3) | instid1(VALU_DEP_3)
	v_subrev_co_ci_u32_e64 v13, s0, 0, v11, vcc_lo
	v_cmp_le_u32_e64 s0, s44, v10
	v_subrev_co_ci_u32_e32 v11, vcc_lo, s45, v11, vcc_lo
	v_cmp_le_u32_e32 vcc_lo, s45, v3
	v_cndmask_b32_e64 v17, 0, -1, s0
	v_cmp_le_u32_e64 s0, s44, v12
	v_cndmask_b32_e64 v20, 0, -1, vcc_lo
	v_cmp_eq_u32_e32 vcc_lo, s45, v13
	s_delay_alu instid0(VALU_DEP_3) | instskip(SKIP_1) | instid1(VALU_DEP_1)
	v_cndmask_b32_e64 v18, 0, -1, s0
	v_cmp_le_u32_e64 s0, s45, v13
	v_cndmask_b32_e64 v19, 0, -1, s0
	v_cmp_eq_u32_e64 s0, s45, v3
	s_delay_alu instid0(VALU_DEP_2) | instskip(SKIP_2) | instid1(VALU_DEP_3)
	v_cndmask_b32_e32 v18, v19, v18, vcc_lo
	v_sub_co_u32 v19, vcc_lo, v12, s44
	v_subrev_co_ci_u32_e32 v11, vcc_lo, 0, v11, vcc_lo
	v_cmp_ne_u32_e32 vcc_lo, 0, v18
	v_cndmask_b32_e64 v17, v20, v17, s0
	s_delay_alu instid0(VALU_DEP_3) | instskip(SKIP_1) | instid1(VALU_DEP_3)
	v_cndmask_b32_e32 v11, v13, v11, vcc_lo
	v_cndmask_b32_e32 v12, v12, v19, vcc_lo
	v_cmp_ne_u32_e32 vcc_lo, 0, v17
	s_delay_alu instid0(VALU_DEP_2) | instskip(NEXT) | instid1(VALU_DEP_1)
	v_dual_cndmask_b32 v10, v10, v12 :: v_dual_cndmask_b32 v3, v3, v11
                                        ; implicit-def: $vgpr12_vgpr13
	v_xor_b32_e32 v10, v10, v21
	s_delay_alu instid0(VALU_DEP_2) | instskip(NEXT) | instid1(VALU_DEP_2)
	v_xor_b32_e32 v3, v3, v21
	v_sub_co_u32 v10, vcc_lo, v10, v21
	s_delay_alu instid0(VALU_DEP_2)
	v_sub_co_ci_u32_e32 v11, vcc_lo, v3, v21, vcc_lo
.LBB18_17:                              ;   in Loop: Header=BB18_3 Depth=1
	s_and_not1_saveexec_b32 s0, s46
	s_cbranch_execz .LBB18_19
; %bb.18:                               ;   in Loop: Header=BB18_3 Depth=1
	v_cvt_f32_u32_e32 v3, s40
	s_sub_i32 s44, 0, s40
	v_mov_b32_e32 v11, v2
	s_delay_alu instid0(VALU_DEP_2) | instskip(SKIP_2) | instid1(VALU_DEP_1)
	v_rcp_iflag_f32_e32 v3, v3
	s_waitcnt_depctr 0xfff
	v_mul_f32_e32 v3, 0x4f7ffffe, v3
	v_cvt_u32_f32_e32 v3, v3
	s_delay_alu instid0(VALU_DEP_1) | instskip(NEXT) | instid1(VALU_DEP_1)
	v_mul_lo_u32 v10, s44, v3
	v_mul_hi_u32 v10, v3, v10
	s_delay_alu instid0(VALU_DEP_1) | instskip(NEXT) | instid1(VALU_DEP_1)
	v_add_nc_u32_e32 v3, v3, v10
	v_mul_hi_u32 v3, v12, v3
	s_delay_alu instid0(VALU_DEP_1) | instskip(NEXT) | instid1(VALU_DEP_1)
	v_mul_lo_u32 v3, v3, s40
	v_sub_nc_u32_e32 v3, v12, v3
	s_delay_alu instid0(VALU_DEP_1) | instskip(SKIP_1) | instid1(VALU_DEP_2)
	v_subrev_nc_u32_e32 v10, s40, v3
	v_cmp_le_u32_e32 vcc_lo, s40, v3
	v_cndmask_b32_e32 v3, v3, v10, vcc_lo
	s_delay_alu instid0(VALU_DEP_1) | instskip(SKIP_1) | instid1(VALU_DEP_2)
	v_subrev_nc_u32_e32 v10, s40, v3
	v_cmp_le_u32_e32 vcc_lo, s40, v3
	v_cndmask_b32_e32 v10, v3, v10, vcc_lo
.LBB18_19:                              ;   in Loop: Header=BB18_3 Depth=1
	s_or_b32 exec_lo, exec_lo, s0
	v_mul_lo_u32 v3, v7, s28
	v_mul_lo_u32 v7, v6, s29
	v_mad_u64_u32 v[12:13], null, v6, s28, 0
	v_mul_lo_u32 v19, s7, v8
	v_mul_lo_u32 v20, s6, v9
	;; [unrolled: 1-line block ×4, first 2 shown]
	s_mov_b32 s44, -1
	s_mov_b32 s0, -1
	v_add3_u32 v6, v13, v7, v3
	v_sub_co_u32 v3, vcc_lo, v16, v12
	s_mov_b32 s45, exec_lo
                                        ; implicit-def: $sgpr47
	s_delay_alu instid0(VALU_DEP_2) | instskip(NEXT) | instid1(VALU_DEP_2)
	v_sub_co_ci_u32_e32 v12, vcc_lo, v15, v6, vcc_lo
	v_mul_lo_u32 v13, s5, v3
	v_mad_u64_u32 v[6:7], null, s4, v3, 0
	s_delay_alu instid0(VALU_DEP_3) | instskip(SKIP_1) | instid1(VALU_DEP_2)
	v_mul_lo_u32 v17, s4, v12
	v_mad_u64_u32 v[15:16], null, s6, v8, 0
	v_add3_u32 v7, v7, v17, v13
	v_mad_u64_u32 v[17:18], null, s8, v10, 0
	s_delay_alu instid0(VALU_DEP_3) | instskip(NEXT) | instid1(VALU_DEP_3)
	v_add3_u32 v16, v16, v20, v19
	v_lshlrev_b64 v[6:7], 3, v[6:7]
	s_delay_alu instid0(VALU_DEP_2) | instskip(NEXT) | instid1(VALU_DEP_4)
	v_lshlrev_b64 v[15:16], 3, v[15:16]
	v_add3_u32 v18, v18, v22, v21
	s_delay_alu instid0(VALU_DEP_3) | instskip(NEXT) | instid1(VALU_DEP_4)
	v_add_co_u32 v13, vcc_lo, s34, v6
	v_add_co_ci_u32_e32 v19, vcc_lo, s35, v7, vcc_lo
	s_delay_alu instid0(VALU_DEP_3) | instskip(NEXT) | instid1(VALU_DEP_3)
	v_lshlrev_b64 v[6:7], 3, v[17:18]
	v_add_co_u32 v13, vcc_lo, v13, v15
	s_delay_alu instid0(VALU_DEP_3) | instskip(NEXT) | instid1(VALU_DEP_2)
	v_add_co_ci_u32_e32 v15, vcc_lo, v19, v16, vcc_lo
	v_add_co_u32 v6, vcc_lo, v13, v6
	s_delay_alu instid0(VALU_DEP_2)
	v_add_co_ci_u32_e32 v7, vcc_lo, v15, v7, vcc_lo
	global_load_b64 v[6:7], v[6:7], off
	s_waitcnt vmcnt(0)
	v_cmpx_ne_u64_e64 s[38:39], v[6:7]
	s_cbranch_execz .LBB18_26
; %bb.20:                               ;   in Loop: Header=BB18_3 Depth=1
	v_cmp_lt_i64_e32 vcc_lo, -1, v[6:7]
	v_cmp_gt_i64_e64 s0, s[42:43], v[6:7]
	s_mov_b32 s46, 0
	s_delay_alu instid0(VALU_DEP_1) | instskip(NEXT) | instid1(SALU_CYCLE_1)
	s_and_b32 s47, vcc_lo, s0
	s_and_saveexec_b32 s0, s47
	s_cbranch_execz .LBB18_25
; %bb.21:                               ;   in Loop: Header=BB18_3 Depth=1
	s_and_not1_b32 vcc_lo, exec_lo, s48
	s_cbranch_vccnz .LBB18_23
; %bb.22:                               ;   in Loop: Header=BB18_3 Depth=1
	v_lshlrev_b64 v[15:16], 1, v[6:7]
	s_delay_alu instid0(VALU_DEP_1) | instskip(NEXT) | instid1(VALU_DEP_2)
	v_add_co_u32 v15, vcc_lo, s36, v15
	v_add_co_ci_u32_e32 v16, vcc_lo, s37, v16, vcc_lo
	global_load_u16 v13, v[15:16], off
	s_branch .LBB18_24
.LBB18_23:                              ;   in Loop: Header=BB18_3 Depth=1
	v_mov_b32_e32 v13, 0x3c00
.LBB18_24:                              ;   in Loop: Header=BB18_3 Depth=1
	v_mul_lo_u32 v17, s13, v3
	v_mul_lo_u32 v18, s12, v12
	v_mad_u64_u32 v[15:16], null, s12, v3, 0
	v_mul_lo_u32 v21, s15, v8
	v_mul_lo_u32 v22, s14, v9
	;; [unrolled: 1-line block ×4, first 2 shown]
	v_mad_u64_u32 v[19:20], null, s16, v10, 0
	v_add3_u32 v16, v16, v18, v17
	v_mad_u64_u32 v[17:18], null, s14, v8, 0
	v_mul_lo_u32 v12, s20, v12
	v_mul_lo_u32 v25, s26, v11
	s_delay_alu instid0(VALU_DEP_4)
	v_lshlrev_b64 v[15:16], 1, v[15:16]
	v_add3_u32 v20, v20, v24, v23
	v_mul_lo_u32 v23, s24, v9
	v_mul_lo_u32 v24, s27, v10
	v_add3_u32 v18, v18, v22, v21
	s_mov_b32 s46, exec_lo
	v_add_co_u32 v21, vcc_lo, s10, v15
	v_add_co_ci_u32_e32 v22, vcc_lo, s11, v16, vcc_lo
	s_delay_alu instid0(VALU_DEP_3) | instskip(SKIP_2) | instid1(VALU_DEP_3)
	v_lshlrev_b64 v[17:18], 1, v[17:18]
	v_lshlrev_b64 v[15:16], 1, v[19:20]
	v_mul_lo_u32 v20, s21, v3
	v_add_co_u32 v17, vcc_lo, v21, v17
	s_delay_alu instid0(VALU_DEP_4) | instskip(SKIP_1) | instid1(VALU_DEP_3)
	v_add_co_ci_u32_e32 v18, vcc_lo, v22, v18, vcc_lo
	v_mul_lo_u32 v21, s22, v7
	v_add_co_u32 v15, vcc_lo, v17, v15
	s_delay_alu instid0(VALU_DEP_3)
	v_add_co_ci_u32_e32 v16, vcc_lo, v18, v16, vcc_lo
	v_mad_u64_u32 v[17:18], null, s22, v6, 0
	v_mul_lo_u32 v22, s25, v8
	global_load_u16 v19, v[15:16], off
	v_mad_u64_u32 v[15:16], null, s20, v3, 0
	v_mul_lo_u32 v3, s23, v6
	v_mad_u64_u32 v[6:7], null, s24, v8, 0
	v_mad_u64_u32 v[8:9], null, s26, v10, 0
	s_delay_alu instid0(VALU_DEP_4) | instskip(NEXT) | instid1(VALU_DEP_4)
	v_add3_u32 v16, v16, v12, v20
	v_add3_u32 v18, v18, v21, v3
	s_delay_alu instid0(VALU_DEP_4) | instskip(NEXT) | instid1(VALU_DEP_3)
	v_add3_u32 v7, v7, v23, v22
	v_lshlrev_b64 v[10:11], 1, v[15:16]
	v_add3_u32 v9, v9, v25, v24
	s_delay_alu instid0(VALU_DEP_4) | instskip(NEXT) | instid1(VALU_DEP_4)
	v_lshlrev_b64 v[15:16], 1, v[17:18]
	v_lshlrev_b64 v[6:7], 1, v[6:7]
	s_delay_alu instid0(VALU_DEP_4) | instskip(SKIP_2) | instid1(VALU_DEP_3)
	v_add_co_u32 v3, vcc_lo, s18, v10
	v_add_co_ci_u32_e32 v10, vcc_lo, s19, v11, vcc_lo
	v_lshlrev_b64 v[8:9], 1, v[8:9]
	v_add_co_u32 v3, vcc_lo, v3, v15
	s_delay_alu instid0(VALU_DEP_3) | instskip(NEXT) | instid1(VALU_DEP_2)
	v_add_co_ci_u32_e32 v10, vcc_lo, v10, v16, vcc_lo
	v_add_co_u32 v3, vcc_lo, v3, v6
	s_delay_alu instid0(VALU_DEP_2) | instskip(NEXT) | instid1(VALU_DEP_2)
	v_add_co_ci_u32_e32 v7, vcc_lo, v10, v7, vcc_lo
	v_add_co_u32 v6, vcc_lo, v3, v8
	s_delay_alu instid0(VALU_DEP_2)
	v_add_co_ci_u32_e32 v7, vcc_lo, v7, v9, vcc_lo
	s_waitcnt vmcnt(0)
	v_mul_f16_e64 v10, v19, -v13
	global_store_b16 v[6:7], v10, off
.LBB18_25:                              ;   in Loop: Header=BB18_3 Depth=1
	s_or_b32 exec_lo, exec_lo, s0
	s_mov_b32 s47, -1
	s_or_not1_b32 s0, s46, exec_lo
.LBB18_26:                              ;   in Loop: Header=BB18_3 Depth=1
	s_or_b32 exec_lo, exec_lo, s45
	s_delay_alu instid0(SALU_CYCLE_1) | instskip(SKIP_1) | instid1(SALU_CYCLE_1)
	s_and_not1_b32 s45, s53, exec_lo
	s_and_b32 s46, s47, exec_lo
	s_or_b32 s53, s45, s46
	s_and_saveexec_b32 s45, s0
	s_cbranch_execz .LBB18_2
; %bb.27:                               ;   in Loop: Header=BB18_3 Depth=1
	v_add_co_u32 v4, vcc_lo, v4, s50
	v_add_co_ci_u32_e32 v5, vcc_lo, 0, v5, vcc_lo
	v_add_co_u32 v0, s0, v0, 0
	s_delay_alu instid0(VALU_DEP_1) | instskip(NEXT) | instid1(VALU_DEP_3)
	v_add_co_ci_u32_e64 v1, s0, s52, v1, s0
	v_cmp_le_i64_e32 vcc_lo, s[2:3], v[4:5]
	s_and_not1_b32 s53, s53, exec_lo
	s_or_not1_b32 s44, vcc_lo, exec_lo
	s_branch .LBB18_2
.LBB18_28:
	s_or_b32 exec_lo, exec_lo, s49
	s_and_saveexec_b32 s0, s51
	s_delay_alu instid0(SALU_CYCLE_1)
	s_xor_b32 s0, exec_lo, s0
	s_cbranch_execnz .LBB18_30
.LBB18_29:
	s_nop 0
	s_sendmsg sendmsg(MSG_DEALLOC_VGPRS)
	s_endpgm
.LBB18_30:
	s_cbranch_execnz .LBB18_32
; %bb.31:
	; divergent unreachable
	s_nop 0
	s_sendmsg sendmsg(MSG_DEALLOC_VGPRS)
	s_endpgm
.LBB18_32:
	s_trap 2
	s_sendmsg_rtn_b32 s0, sendmsg(MSG_RTN_GET_DOORBELL)
	s_mov_b32 ttmp2, m0
	s_waitcnt lgkmcnt(0)
	s_and_b32 s0, s0, 0x3ff
	s_delay_alu instid0(SALU_CYCLE_1) | instskip(NEXT) | instid1(SALU_CYCLE_1)
	s_bitset1_b32 s0, 10
	s_mov_b32 m0, s0
	s_sendmsg sendmsg(MSG_INTERRUPT)
	s_mov_b32 m0, ttmp2
.LBB18_33:                              ; =>This Inner Loop Header: Depth=1
	s_sethalt 5
	s_branch .LBB18_33
	.section	.rodata,"a",@progbits
	.p2align	6, 0x0
	.amdhsa_kernel _ZN2at6native12_GLOBAL__N_136nll_loss2d_backward_no_reduce_kernelIN3c104HalfEEEvlN5torch10headeronly6detail27GenericPackedTensorAccessorINS7_14TensorAccessorINS3_8ArrayRefIlEElLm2ENS6_16DefaultPtrTraitsElEENS_6detail16IndexBoundsCheckILm3ElEElLm3ESC_lEENS8_INS9_ISB_T_Lm2ESC_lEESG_SI_Lm3ESC_lEENS8_INS9_ISB_SI_Lm3ESC_lEENSF_ILm4ElEESI_Lm4ESC_lEEPKSI_l
		.amdhsa_group_segment_fixed_size 0
		.amdhsa_private_segment_fixed_size 0
		.amdhsa_kernarg_size 464
		.amdhsa_user_sgpr_count 15
		.amdhsa_user_sgpr_dispatch_ptr 0
		.amdhsa_user_sgpr_queue_ptr 0
		.amdhsa_user_sgpr_kernarg_segment_ptr 1
		.amdhsa_user_sgpr_dispatch_id 0
		.amdhsa_user_sgpr_private_segment_size 0
		.amdhsa_wavefront_size32 1
		.amdhsa_uses_dynamic_stack 0
		.amdhsa_enable_private_segment 0
		.amdhsa_system_sgpr_workgroup_id_x 1
		.amdhsa_system_sgpr_workgroup_id_y 0
		.amdhsa_system_sgpr_workgroup_id_z 0
		.amdhsa_system_sgpr_workgroup_info 0
		.amdhsa_system_vgpr_workitem_id 0
		.amdhsa_next_free_vgpr 26
		.amdhsa_next_free_sgpr 56
		.amdhsa_reserve_vcc 1
		.amdhsa_float_round_mode_32 0
		.amdhsa_float_round_mode_16_64 0
		.amdhsa_float_denorm_mode_32 3
		.amdhsa_float_denorm_mode_16_64 3
		.amdhsa_dx10_clamp 1
		.amdhsa_ieee_mode 1
		.amdhsa_fp16_overflow 0
		.amdhsa_workgroup_processor_mode 1
		.amdhsa_memory_ordered 1
		.amdhsa_forward_progress 0
		.amdhsa_shared_vgpr_count 0
		.amdhsa_exception_fp_ieee_invalid_op 0
		.amdhsa_exception_fp_denorm_src 0
		.amdhsa_exception_fp_ieee_div_zero 0
		.amdhsa_exception_fp_ieee_overflow 0
		.amdhsa_exception_fp_ieee_underflow 0
		.amdhsa_exception_fp_ieee_inexact 0
		.amdhsa_exception_int_div_zero 0
	.end_amdhsa_kernel
	.section	.text._ZN2at6native12_GLOBAL__N_136nll_loss2d_backward_no_reduce_kernelIN3c104HalfEEEvlN5torch10headeronly6detail27GenericPackedTensorAccessorINS7_14TensorAccessorINS3_8ArrayRefIlEElLm2ENS6_16DefaultPtrTraitsElEENS_6detail16IndexBoundsCheckILm3ElEElLm3ESC_lEENS8_INS9_ISB_T_Lm2ESC_lEESG_SI_Lm3ESC_lEENS8_INS9_ISB_SI_Lm3ESC_lEENSF_ILm4ElEESI_Lm4ESC_lEEPKSI_l,"axG",@progbits,_ZN2at6native12_GLOBAL__N_136nll_loss2d_backward_no_reduce_kernelIN3c104HalfEEEvlN5torch10headeronly6detail27GenericPackedTensorAccessorINS7_14TensorAccessorINS3_8ArrayRefIlEElLm2ENS6_16DefaultPtrTraitsElEENS_6detail16IndexBoundsCheckILm3ElEElLm3ESC_lEENS8_INS9_ISB_T_Lm2ESC_lEESG_SI_Lm3ESC_lEENS8_INS9_ISB_SI_Lm3ESC_lEENSF_ILm4ElEESI_Lm4ESC_lEEPKSI_l,comdat
.Lfunc_end18:
	.size	_ZN2at6native12_GLOBAL__N_136nll_loss2d_backward_no_reduce_kernelIN3c104HalfEEEvlN5torch10headeronly6detail27GenericPackedTensorAccessorINS7_14TensorAccessorINS3_8ArrayRefIlEElLm2ENS6_16DefaultPtrTraitsElEENS_6detail16IndexBoundsCheckILm3ElEElLm3ESC_lEENS8_INS9_ISB_T_Lm2ESC_lEESG_SI_Lm3ESC_lEENS8_INS9_ISB_SI_Lm3ESC_lEENSF_ILm4ElEESI_Lm4ESC_lEEPKSI_l, .Lfunc_end18-_ZN2at6native12_GLOBAL__N_136nll_loss2d_backward_no_reduce_kernelIN3c104HalfEEEvlN5torch10headeronly6detail27GenericPackedTensorAccessorINS7_14TensorAccessorINS3_8ArrayRefIlEElLm2ENS6_16DefaultPtrTraitsElEENS_6detail16IndexBoundsCheckILm3ElEElLm3ESC_lEENS8_INS9_ISB_T_Lm2ESC_lEESG_SI_Lm3ESC_lEENS8_INS9_ISB_SI_Lm3ESC_lEENSF_ILm4ElEESI_Lm4ESC_lEEPKSI_l
                                        ; -- End function
	.section	.AMDGPU.csdata,"",@progbits
; Kernel info:
; codeLenInByte = 5212
; NumSgprs: 58
; NumVgprs: 26
; ScratchSize: 0
; MemoryBound: 0
; FloatMode: 240
; IeeeMode: 1
; LDSByteSize: 0 bytes/workgroup (compile time only)
; SGPRBlocks: 7
; VGPRBlocks: 3
; NumSGPRsForWavesPerEU: 58
; NumVGPRsForWavesPerEU: 26
; Occupancy: 16
; WaveLimiterHint : 1
; COMPUTE_PGM_RSRC2:SCRATCH_EN: 0
; COMPUTE_PGM_RSRC2:USER_SGPR: 15
; COMPUTE_PGM_RSRC2:TRAP_HANDLER: 0
; COMPUTE_PGM_RSRC2:TGID_X_EN: 1
; COMPUTE_PGM_RSRC2:TGID_Y_EN: 0
; COMPUTE_PGM_RSRC2:TGID_Z_EN: 0
; COMPUTE_PGM_RSRC2:TIDIG_COMP_CNT: 0
	.section	.text._ZN2at6native12_GLOBAL__N_136nll_loss2d_backward_no_reduce_kernelIN3c108BFloat16EEEvlN5torch10headeronly6detail27GenericPackedTensorAccessorINS7_14TensorAccessorINS3_8ArrayRefIlEElLm2ENS6_16DefaultPtrTraitsElEENS_6detail16IndexBoundsCheckILm3ElEElLm3ESC_lEENS8_INS9_ISB_T_Lm2ESC_lEESG_SI_Lm3ESC_lEENS8_INS9_ISB_SI_Lm3ESC_lEENSF_ILm4ElEESI_Lm4ESC_lEEPKSI_l,"axG",@progbits,_ZN2at6native12_GLOBAL__N_136nll_loss2d_backward_no_reduce_kernelIN3c108BFloat16EEEvlN5torch10headeronly6detail27GenericPackedTensorAccessorINS7_14TensorAccessorINS3_8ArrayRefIlEElLm2ENS6_16DefaultPtrTraitsElEENS_6detail16IndexBoundsCheckILm3ElEElLm3ESC_lEENS8_INS9_ISB_T_Lm2ESC_lEESG_SI_Lm3ESC_lEENS8_INS9_ISB_SI_Lm3ESC_lEENSF_ILm4ElEESI_Lm4ESC_lEEPKSI_l,comdat
	.globl	_ZN2at6native12_GLOBAL__N_136nll_loss2d_backward_no_reduce_kernelIN3c108BFloat16EEEvlN5torch10headeronly6detail27GenericPackedTensorAccessorINS7_14TensorAccessorINS3_8ArrayRefIlEElLm2ENS6_16DefaultPtrTraitsElEENS_6detail16IndexBoundsCheckILm3ElEElLm3ESC_lEENS8_INS9_ISB_T_Lm2ESC_lEESG_SI_Lm3ESC_lEENS8_INS9_ISB_SI_Lm3ESC_lEENSF_ILm4ElEESI_Lm4ESC_lEEPKSI_l ; -- Begin function _ZN2at6native12_GLOBAL__N_136nll_loss2d_backward_no_reduce_kernelIN3c108BFloat16EEEvlN5torch10headeronly6detail27GenericPackedTensorAccessorINS7_14TensorAccessorINS3_8ArrayRefIlEElLm2ENS6_16DefaultPtrTraitsElEENS_6detail16IndexBoundsCheckILm3ElEElLm3ESC_lEENS8_INS9_ISB_T_Lm2ESC_lEESG_SI_Lm3ESC_lEENS8_INS9_ISB_SI_Lm3ESC_lEENSF_ILm4ElEESI_Lm4ESC_lEEPKSI_l
	.p2align	8
	.type	_ZN2at6native12_GLOBAL__N_136nll_loss2d_backward_no_reduce_kernelIN3c108BFloat16EEEvlN5torch10headeronly6detail27GenericPackedTensorAccessorINS7_14TensorAccessorINS3_8ArrayRefIlEElLm2ENS6_16DefaultPtrTraitsElEENS_6detail16IndexBoundsCheckILm3ElEElLm3ESC_lEENS8_INS9_ISB_T_Lm2ESC_lEESG_SI_Lm3ESC_lEENS8_INS9_ISB_SI_Lm3ESC_lEENSF_ILm4ElEESI_Lm4ESC_lEEPKSI_l,@function
_ZN2at6native12_GLOBAL__N_136nll_loss2d_backward_no_reduce_kernelIN3c108BFloat16EEEvlN5torch10headeronly6detail27GenericPackedTensorAccessorINS7_14TensorAccessorINS3_8ArrayRefIlEElLm2ENS6_16DefaultPtrTraitsElEENS_6detail16IndexBoundsCheckILm3ElEElLm3ESC_lEENS8_INS9_ISB_T_Lm2ESC_lEESG_SI_Lm3ESC_lEENS8_INS9_ISB_SI_Lm3ESC_lEENSF_ILm4ElEESI_Lm4ESC_lEEPKSI_l: ; @_ZN2at6native12_GLOBAL__N_136nll_loss2d_backward_no_reduce_kernelIN3c108BFloat16EEEvlN5torch10headeronly6detail27GenericPackedTensorAccessorINS7_14TensorAccessorINS3_8ArrayRefIlEElLm2ENS6_16DefaultPtrTraitsElEENS_6detail16IndexBoundsCheckILm3ElEElLm3ESC_lEENS8_INS9_ISB_T_Lm2ESC_lEESG_SI_Lm3ESC_lEENS8_INS9_ISB_SI_Lm3ESC_lEENSF_ILm4ElEESI_Lm4ESC_lEEPKSI_l
; %bb.0:
	s_clause 0x1
	s_load_b32 s4, s[0:1], 0xdc
	s_load_b64 s[2:3], s[0:1], 0x0
	v_mov_b32_e32 v2, 0
	s_add_u32 s12, s0, 0xd0
	s_addc_u32 s13, s1, 0
	s_delay_alu instid0(VALU_DEP_1) | instskip(SKIP_3) | instid1(VALU_DEP_1)
	v_mov_b32_e32 v1, v2
	s_waitcnt lgkmcnt(0)
	s_and_b32 s44, s4, 0xffff
	s_mov_b32 s4, exec_lo
	v_mad_u64_u32 v[4:5], null, s44, s15, v[0:1]
	s_delay_alu instid0(VALU_DEP_1)
	v_cmpx_gt_i64_e64 s[2:3], v[4:5]
	s_cbranch_execz .LBB19_29
; %bb.1:
	s_clause 0x4
	s_load_b128 s[28:31], s[0:1], 0x10
	s_load_b128 s[36:39], s[0:1], 0xc0
	s_load_b64 s[34:35], s[0:1], 0x8
	s_load_b64 s[40:41], s[0:1], 0x20
	s_load_b256 s[4:11], s[0:1], 0x28
	s_load_b32 s45, s[12:13], 0x0
	s_clause 0x2
	s_load_b64 s[42:43], s[0:1], 0x88
	s_load_b256 s[12:19], s[0:1], 0x60
	s_load_b256 s[20:27], s[0:1], 0xa0
	s_mov_b32 s49, 0
                                        ; implicit-def: $sgpr51
                                        ; implicit-def: $sgpr53
	s_waitcnt lgkmcnt(0)
	v_cvt_f32_u32_e32 v0, s28
	s_mul_i32 s0, s30, s29
	s_mul_hi_u32 s1, s30, s28
	s_mul_i32 s33, s31, s28
	s_add_i32 s0, s1, s0
	v_rcp_iflag_f32_e32 v0, v0
	v_mov_b32_e32 v3, v4
	s_add_i32 s1, s0, s33
	s_cmp_lg_u64 s[36:37], 0
	s_mul_i32 s50, s45, s44
	s_mul_i32 s33, s30, s28
	s_cselect_b32 s48, -1, 0
	s_mov_b32 s52, s50
	s_waitcnt_depctr 0xfff
	v_mul_f32_e32 v0, 0x4f7ffffe, v0
	s_delay_alu instid0(VALU_DEP_1)
	v_cvt_u32_f32_e32 v14, v0
	v_dual_mov_b32 v0, v2 :: v_dual_mov_b32 v1, v3
	s_branch .LBB19_3
.LBB19_2:                               ;   in Loop: Header=BB19_3 Depth=1
	s_or_b32 exec_lo, exec_lo, s45
	s_delay_alu instid0(SALU_CYCLE_1) | instskip(NEXT) | instid1(SALU_CYCLE_1)
	s_and_b32 s0, exec_lo, s44
	s_or_b32 s49, s0, s49
	s_and_not1_b32 s0, s51, exec_lo
	s_and_b32 s44, s53, exec_lo
	s_delay_alu instid0(SALU_CYCLE_1)
	s_or_b32 s51, s0, s44
	s_and_not1_b32 exec_lo, exec_lo, s49
	s_cbranch_execz .LBB19_28
.LBB19_3:                               ; =>This Inner Loop Header: Depth=1
	s_delay_alu instid0(VALU_DEP_1) | instskip(SKIP_2) | instid1(VALU_DEP_2)
	v_ashrrev_i32_e32 v15, 31, v1
	v_mov_b32_e32 v16, v1
                                        ; implicit-def: $vgpr6_vgpr7
	s_mov_b32 s0, exec_lo
	v_or_b32_e32 v3, s29, v15
	s_delay_alu instid0(VALU_DEP_1)
	v_cmpx_ne_u64_e32 0, v[2:3]
	s_xor_b32 s54, exec_lo, s0
	s_cbranch_execz .LBB19_5
; %bb.4:                                ;   in Loop: Header=BB19_3 Depth=1
	s_ashr_i32 s44, s29, 31
	s_delay_alu instid0(SALU_CYCLE_1) | instskip(SKIP_2) | instid1(SALU_CYCLE_1)
	s_add_u32 s46, s28, s44
	s_mov_b32 s45, s44
	s_addc_u32 s47, s29, s44
	s_xor_b64 s[46:47], s[46:47], s[44:45]
	s_delay_alu instid0(SALU_CYCLE_1) | instskip(SKIP_3) | instid1(VALU_DEP_1)
	v_cvt_f32_u32_e32 v3, s46
	v_cvt_f32_u32_e32 v6, s47
	s_sub_u32 s0, 0, s46
	s_subb_u32 s45, 0, s47
	v_fmac_f32_e32 v3, 0x4f800000, v6
	s_delay_alu instid0(VALU_DEP_1) | instskip(SKIP_2) | instid1(VALU_DEP_1)
	v_rcp_f32_e32 v3, v3
	s_waitcnt_depctr 0xfff
	v_mul_f32_e32 v3, 0x5f7ffffc, v3
	v_mul_f32_e32 v6, 0x2f800000, v3
	s_delay_alu instid0(VALU_DEP_1) | instskip(NEXT) | instid1(VALU_DEP_1)
	v_trunc_f32_e32 v6, v6
	v_fmac_f32_e32 v3, 0xcf800000, v6
	v_cvt_u32_f32_e32 v6, v6
	s_delay_alu instid0(VALU_DEP_2) | instskip(NEXT) | instid1(VALU_DEP_2)
	v_cvt_u32_f32_e32 v3, v3
	v_mul_lo_u32 v7, s0, v6
	s_delay_alu instid0(VALU_DEP_2) | instskip(SKIP_1) | instid1(VALU_DEP_2)
	v_mul_hi_u32 v8, s0, v3
	v_mul_lo_u32 v9, s45, v3
	v_add_nc_u32_e32 v7, v8, v7
	v_mul_lo_u32 v8, s0, v3
	s_delay_alu instid0(VALU_DEP_2) | instskip(NEXT) | instid1(VALU_DEP_2)
	v_add_nc_u32_e32 v7, v7, v9
	v_mul_hi_u32 v9, v3, v8
	s_delay_alu instid0(VALU_DEP_2)
	v_mul_lo_u32 v10, v3, v7
	v_mul_hi_u32 v11, v3, v7
	v_mul_hi_u32 v12, v6, v8
	v_mul_lo_u32 v8, v6, v8
	v_mul_hi_u32 v13, v6, v7
	v_mul_lo_u32 v7, v6, v7
	v_add_co_u32 v9, vcc_lo, v9, v10
	v_add_co_ci_u32_e32 v10, vcc_lo, 0, v11, vcc_lo
	s_delay_alu instid0(VALU_DEP_2) | instskip(NEXT) | instid1(VALU_DEP_2)
	v_add_co_u32 v8, vcc_lo, v9, v8
	v_add_co_ci_u32_e32 v8, vcc_lo, v10, v12, vcc_lo
	v_add_co_ci_u32_e32 v9, vcc_lo, 0, v13, vcc_lo
	v_ashrrev_i32_e32 v12, 31, v15
	s_delay_alu instid0(VALU_DEP_3) | instskip(NEXT) | instid1(VALU_DEP_3)
	v_add_co_u32 v7, vcc_lo, v8, v7
	v_add_co_ci_u32_e32 v8, vcc_lo, 0, v9, vcc_lo
	s_delay_alu instid0(VALU_DEP_2) | instskip(NEXT) | instid1(VALU_DEP_2)
	v_add_co_u32 v3, vcc_lo, v3, v7
	v_add_co_ci_u32_e32 v6, vcc_lo, v6, v8, vcc_lo
	s_delay_alu instid0(VALU_DEP_2) | instskip(SKIP_1) | instid1(VALU_DEP_3)
	v_mul_hi_u32 v7, s0, v3
	v_mul_lo_u32 v9, s45, v3
	v_mul_lo_u32 v8, s0, v6
	s_delay_alu instid0(VALU_DEP_1) | instskip(SKIP_1) | instid1(VALU_DEP_2)
	v_add_nc_u32_e32 v7, v7, v8
	v_mul_lo_u32 v8, s0, v3
	v_add_nc_u32_e32 v7, v7, v9
	s_delay_alu instid0(VALU_DEP_2) | instskip(NEXT) | instid1(VALU_DEP_2)
	v_mul_hi_u32 v9, v3, v8
	v_mul_lo_u32 v10, v3, v7
	v_mul_hi_u32 v11, v3, v7
	v_mul_hi_u32 v13, v6, v8
	v_mul_lo_u32 v8, v6, v8
	v_mul_hi_u32 v17, v6, v7
	v_mul_lo_u32 v7, v6, v7
	v_add_co_u32 v9, vcc_lo, v9, v10
	v_add_co_ci_u32_e32 v10, vcc_lo, 0, v11, vcc_lo
	s_delay_alu instid0(VALU_DEP_2) | instskip(NEXT) | instid1(VALU_DEP_2)
	v_add_co_u32 v8, vcc_lo, v9, v8
	v_add_co_ci_u32_e32 v8, vcc_lo, v10, v13, vcc_lo
	v_add_co_ci_u32_e32 v9, vcc_lo, 0, v17, vcc_lo
	v_add_co_u32 v10, vcc_lo, v16, v12
	v_add_co_ci_u32_e32 v11, vcc_lo, v15, v12, vcc_lo
	s_delay_alu instid0(VALU_DEP_4) | instskip(NEXT) | instid1(VALU_DEP_4)
	v_add_co_u32 v7, vcc_lo, v8, v7
	v_add_co_ci_u32_e32 v8, vcc_lo, 0, v9, vcc_lo
	s_delay_alu instid0(VALU_DEP_4) | instskip(NEXT) | instid1(VALU_DEP_3)
	v_xor_b32_e32 v13, v10, v12
	v_add_co_u32 v3, vcc_lo, v3, v7
	s_delay_alu instid0(VALU_DEP_3) | instskip(SKIP_1) | instid1(VALU_DEP_3)
	v_add_co_ci_u32_e32 v17, vcc_lo, v6, v8, vcc_lo
	v_xor_b32_e32 v18, v11, v12
	v_mul_hi_u32 v19, v13, v3
	s_delay_alu instid0(VALU_DEP_3) | instskip(NEXT) | instid1(VALU_DEP_3)
	v_mad_u64_u32 v[6:7], null, v13, v17, 0
	v_mad_u64_u32 v[8:9], null, v18, v3, 0
	;; [unrolled: 1-line block ×3, first 2 shown]
	s_delay_alu instid0(VALU_DEP_3) | instskip(NEXT) | instid1(VALU_DEP_4)
	v_add_co_u32 v3, vcc_lo, v19, v6
	v_add_co_ci_u32_e32 v6, vcc_lo, 0, v7, vcc_lo
	s_delay_alu instid0(VALU_DEP_2) | instskip(NEXT) | instid1(VALU_DEP_2)
	v_add_co_u32 v3, vcc_lo, v3, v8
	v_add_co_ci_u32_e32 v3, vcc_lo, v6, v9, vcc_lo
	v_add_co_ci_u32_e32 v6, vcc_lo, 0, v11, vcc_lo
	s_delay_alu instid0(VALU_DEP_2) | instskip(NEXT) | instid1(VALU_DEP_2)
	v_add_co_u32 v3, vcc_lo, v3, v10
	v_add_co_ci_u32_e32 v8, vcc_lo, 0, v6, vcc_lo
	s_delay_alu instid0(VALU_DEP_2) | instskip(SKIP_1) | instid1(VALU_DEP_3)
	v_mul_lo_u32 v9, s47, v3
	v_mad_u64_u32 v[6:7], null, s46, v3, 0
	v_mul_lo_u32 v10, s46, v8
	s_delay_alu instid0(VALU_DEP_2) | instskip(NEXT) | instid1(VALU_DEP_2)
	v_sub_co_u32 v6, vcc_lo, v13, v6
	v_add3_u32 v7, v7, v10, v9
	s_delay_alu instid0(VALU_DEP_1) | instskip(NEXT) | instid1(VALU_DEP_1)
	v_sub_nc_u32_e32 v9, v18, v7
	v_subrev_co_ci_u32_e64 v9, s0, s47, v9, vcc_lo
	v_add_co_u32 v10, s0, v3, 2
	s_delay_alu instid0(VALU_DEP_1) | instskip(SKIP_3) | instid1(VALU_DEP_3)
	v_add_co_ci_u32_e64 v11, s0, 0, v8, s0
	v_sub_co_u32 v13, s0, v6, s46
	v_sub_co_ci_u32_e32 v7, vcc_lo, v18, v7, vcc_lo
	v_subrev_co_ci_u32_e64 v9, s0, 0, v9, s0
	v_cmp_le_u32_e32 vcc_lo, s46, v13
	s_delay_alu instid0(VALU_DEP_3) | instskip(SKIP_1) | instid1(VALU_DEP_4)
	v_cmp_eq_u32_e64 s0, s47, v7
	v_cndmask_b32_e64 v13, 0, -1, vcc_lo
	v_cmp_le_u32_e32 vcc_lo, s47, v9
	v_cndmask_b32_e64 v17, 0, -1, vcc_lo
	v_cmp_le_u32_e32 vcc_lo, s46, v6
	;; [unrolled: 2-line block ×3, first 2 shown]
	v_cndmask_b32_e64 v18, 0, -1, vcc_lo
	v_cmp_eq_u32_e32 vcc_lo, s47, v9
	s_delay_alu instid0(VALU_DEP_2) | instskip(SKIP_3) | instid1(VALU_DEP_3)
	v_cndmask_b32_e64 v6, v18, v6, s0
	v_cndmask_b32_e32 v9, v17, v13, vcc_lo
	v_add_co_u32 v13, vcc_lo, v3, 1
	v_add_co_ci_u32_e32 v17, vcc_lo, 0, v8, vcc_lo
	v_cmp_ne_u32_e32 vcc_lo, 0, v9
	s_delay_alu instid0(VALU_DEP_2) | instskip(NEXT) | instid1(VALU_DEP_4)
	v_cndmask_b32_e32 v7, v17, v11, vcc_lo
	v_cndmask_b32_e32 v9, v13, v10, vcc_lo
	v_cmp_ne_u32_e32 vcc_lo, 0, v6
	v_xor_b32_e32 v10, s44, v12
	s_delay_alu instid0(VALU_DEP_3) | instskip(NEXT) | instid1(VALU_DEP_1)
	v_dual_cndmask_b32 v3, v3, v9 :: v_dual_cndmask_b32 v6, v8, v7
	v_xor_b32_e32 v3, v3, v10
	s_delay_alu instid0(VALU_DEP_2) | instskip(NEXT) | instid1(VALU_DEP_2)
	v_xor_b32_e32 v7, v6, v10
	v_sub_co_u32 v6, vcc_lo, v3, v10
	s_delay_alu instid0(VALU_DEP_2)
	v_sub_co_ci_u32_e32 v7, vcc_lo, v7, v10, vcc_lo
.LBB19_5:                               ;   in Loop: Header=BB19_3 Depth=1
	s_and_not1_saveexec_b32 s0, s54
	s_cbranch_execz .LBB19_7
; %bb.6:                                ;   in Loop: Header=BB19_3 Depth=1
	s_sub_i32 s44, 0, s28
	s_delay_alu instid0(SALU_CYCLE_1) | instskip(NEXT) | instid1(VALU_DEP_1)
	v_mul_lo_u32 v3, s44, v14
	v_mul_hi_u32 v3, v14, v3
	s_delay_alu instid0(VALU_DEP_1) | instskip(NEXT) | instid1(VALU_DEP_1)
	v_add_nc_u32_e32 v3, v14, v3
	v_mul_hi_u32 v3, v16, v3
	s_delay_alu instid0(VALU_DEP_1) | instskip(NEXT) | instid1(VALU_DEP_1)
	v_mul_lo_u32 v6, v3, s28
	v_sub_nc_u32_e32 v6, v16, v6
	s_delay_alu instid0(VALU_DEP_1) | instskip(SKIP_1) | instid1(VALU_DEP_2)
	v_subrev_nc_u32_e32 v8, s28, v6
	v_cmp_le_u32_e32 vcc_lo, s28, v6
	v_dual_cndmask_b32 v6, v6, v8 :: v_dual_add_nc_u32 v7, 1, v3
	s_delay_alu instid0(VALU_DEP_1) | instskip(NEXT) | instid1(VALU_DEP_2)
	v_cndmask_b32_e32 v3, v3, v7, vcc_lo
	v_cmp_le_u32_e32 vcc_lo, s28, v6
	s_delay_alu instid0(VALU_DEP_2) | instskip(NEXT) | instid1(VALU_DEP_1)
	v_add_nc_u32_e32 v7, 1, v3
	v_dual_cndmask_b32 v6, v3, v7 :: v_dual_mov_b32 v7, v2
.LBB19_7:                               ;   in Loop: Header=BB19_3 Depth=1
	s_or_b32 exec_lo, exec_lo, s0
	s_delay_alu instid0(VALU_DEP_1) | instskip(SKIP_1) | instid1(VALU_DEP_1)
	v_or_b32_e32 v3, s31, v7
                                        ; implicit-def: $vgpr8_vgpr9
	s_mov_b32 s0, exec_lo
	v_cmpx_ne_u64_e32 0, v[2:3]
	s_xor_b32 s46, exec_lo, s0
	s_cbranch_execz .LBB19_9
; %bb.8:                                ;   in Loop: Header=BB19_3 Depth=1
	s_ashr_i32 s44, s31, 31
	s_delay_alu instid0(SALU_CYCLE_1) | instskip(SKIP_2) | instid1(SALU_CYCLE_1)
	s_add_u32 s54, s30, s44
	s_mov_b32 s45, s44
	s_addc_u32 s55, s31, s44
	s_xor_b64 s[44:45], s[54:55], s[44:45]
	s_delay_alu instid0(SALU_CYCLE_1) | instskip(SKIP_3) | instid1(VALU_DEP_1)
	v_cvt_f32_u32_e32 v3, s44
	v_cvt_f32_u32_e32 v8, s45
	s_sub_u32 s0, 0, s44
	s_subb_u32 s47, 0, s45
	v_fmac_f32_e32 v3, 0x4f800000, v8
	s_delay_alu instid0(VALU_DEP_1) | instskip(SKIP_2) | instid1(VALU_DEP_1)
	v_rcp_f32_e32 v3, v3
	s_waitcnt_depctr 0xfff
	v_mul_f32_e32 v3, 0x5f7ffffc, v3
	v_mul_f32_e32 v8, 0x2f800000, v3
	s_delay_alu instid0(VALU_DEP_1) | instskip(NEXT) | instid1(VALU_DEP_1)
	v_trunc_f32_e32 v8, v8
	v_fmac_f32_e32 v3, 0xcf800000, v8
	v_cvt_u32_f32_e32 v8, v8
	s_delay_alu instid0(VALU_DEP_2) | instskip(NEXT) | instid1(VALU_DEP_2)
	v_cvt_u32_f32_e32 v3, v3
	v_mul_lo_u32 v9, s0, v8
	s_delay_alu instid0(VALU_DEP_2) | instskip(SKIP_1) | instid1(VALU_DEP_2)
	v_mul_hi_u32 v10, s0, v3
	v_mul_lo_u32 v11, s47, v3
	v_add_nc_u32_e32 v9, v10, v9
	v_mul_lo_u32 v10, s0, v3
	s_delay_alu instid0(VALU_DEP_2) | instskip(NEXT) | instid1(VALU_DEP_2)
	v_add_nc_u32_e32 v9, v9, v11
	v_mul_hi_u32 v11, v3, v10
	s_delay_alu instid0(VALU_DEP_2)
	v_mul_lo_u32 v12, v3, v9
	v_mul_hi_u32 v13, v3, v9
	v_mul_hi_u32 v17, v8, v10
	v_mul_lo_u32 v10, v8, v10
	v_mul_hi_u32 v18, v8, v9
	v_mul_lo_u32 v9, v8, v9
	v_add_co_u32 v11, vcc_lo, v11, v12
	v_add_co_ci_u32_e32 v12, vcc_lo, 0, v13, vcc_lo
	s_delay_alu instid0(VALU_DEP_2) | instskip(NEXT) | instid1(VALU_DEP_2)
	v_add_co_u32 v10, vcc_lo, v11, v10
	v_add_co_ci_u32_e32 v10, vcc_lo, v12, v17, vcc_lo
	v_add_co_ci_u32_e32 v11, vcc_lo, 0, v18, vcc_lo
	v_ashrrev_i32_e32 v17, 31, v7
	s_delay_alu instid0(VALU_DEP_3) | instskip(NEXT) | instid1(VALU_DEP_3)
	v_add_co_u32 v9, vcc_lo, v10, v9
	v_add_co_ci_u32_e32 v10, vcc_lo, 0, v11, vcc_lo
	s_delay_alu instid0(VALU_DEP_2) | instskip(NEXT) | instid1(VALU_DEP_2)
	v_add_co_u32 v3, vcc_lo, v3, v9
	v_add_co_ci_u32_e32 v8, vcc_lo, v8, v10, vcc_lo
	s_delay_alu instid0(VALU_DEP_2) | instskip(SKIP_1) | instid1(VALU_DEP_3)
	v_mul_hi_u32 v9, s0, v3
	v_mul_lo_u32 v11, s47, v3
	v_mul_lo_u32 v10, s0, v8
	s_delay_alu instid0(VALU_DEP_1) | instskip(SKIP_1) | instid1(VALU_DEP_2)
	v_add_nc_u32_e32 v9, v9, v10
	v_mul_lo_u32 v10, s0, v3
	v_add_nc_u32_e32 v9, v9, v11
	s_delay_alu instid0(VALU_DEP_2) | instskip(NEXT) | instid1(VALU_DEP_2)
	v_mul_hi_u32 v11, v3, v10
	v_mul_lo_u32 v12, v3, v9
	v_mul_hi_u32 v13, v3, v9
	v_mul_hi_u32 v18, v8, v10
	v_mul_lo_u32 v10, v8, v10
	v_mul_hi_u32 v19, v8, v9
	v_mul_lo_u32 v9, v8, v9
	v_add_co_u32 v11, vcc_lo, v11, v12
	v_add_co_ci_u32_e32 v12, vcc_lo, 0, v13, vcc_lo
	s_delay_alu instid0(VALU_DEP_2) | instskip(NEXT) | instid1(VALU_DEP_2)
	v_add_co_u32 v10, vcc_lo, v11, v10
	v_add_co_ci_u32_e32 v10, vcc_lo, v12, v18, vcc_lo
	v_add_co_ci_u32_e32 v11, vcc_lo, 0, v19, vcc_lo
	v_add_co_u32 v12, vcc_lo, v6, v17
	v_add_co_ci_u32_e32 v13, vcc_lo, v7, v17, vcc_lo
	s_delay_alu instid0(VALU_DEP_4) | instskip(NEXT) | instid1(VALU_DEP_4)
	v_add_co_u32 v9, vcc_lo, v10, v9
	v_add_co_ci_u32_e32 v10, vcc_lo, 0, v11, vcc_lo
	s_delay_alu instid0(VALU_DEP_4) | instskip(NEXT) | instid1(VALU_DEP_3)
	v_xor_b32_e32 v18, v12, v17
	v_add_co_u32 v3, vcc_lo, v3, v9
	s_delay_alu instid0(VALU_DEP_3) | instskip(SKIP_1) | instid1(VALU_DEP_3)
	v_add_co_ci_u32_e32 v19, vcc_lo, v8, v10, vcc_lo
	v_xor_b32_e32 v20, v13, v17
	v_mul_hi_u32 v21, v18, v3
	s_delay_alu instid0(VALU_DEP_3) | instskip(NEXT) | instid1(VALU_DEP_3)
	v_mad_u64_u32 v[8:9], null, v18, v19, 0
	v_mad_u64_u32 v[10:11], null, v20, v3, 0
	;; [unrolled: 1-line block ×3, first 2 shown]
	s_delay_alu instid0(VALU_DEP_3) | instskip(NEXT) | instid1(VALU_DEP_4)
	v_add_co_u32 v3, vcc_lo, v21, v8
	v_add_co_ci_u32_e32 v8, vcc_lo, 0, v9, vcc_lo
	s_delay_alu instid0(VALU_DEP_2) | instskip(NEXT) | instid1(VALU_DEP_2)
	v_add_co_u32 v3, vcc_lo, v3, v10
	v_add_co_ci_u32_e32 v3, vcc_lo, v8, v11, vcc_lo
	v_add_co_ci_u32_e32 v8, vcc_lo, 0, v13, vcc_lo
	s_delay_alu instid0(VALU_DEP_2) | instskip(NEXT) | instid1(VALU_DEP_2)
	v_add_co_u32 v3, vcc_lo, v3, v12
	v_add_co_ci_u32_e32 v10, vcc_lo, 0, v8, vcc_lo
	s_delay_alu instid0(VALU_DEP_2) | instskip(SKIP_1) | instid1(VALU_DEP_3)
	v_mul_lo_u32 v11, s45, v3
	v_mad_u64_u32 v[8:9], null, s44, v3, 0
	v_mul_lo_u32 v3, s44, v10
	s_delay_alu instid0(VALU_DEP_2) | instskip(NEXT) | instid1(VALU_DEP_2)
	v_sub_co_u32 v8, vcc_lo, v18, v8
	v_add3_u32 v3, v9, v3, v11
	s_delay_alu instid0(VALU_DEP_1) | instskip(NEXT) | instid1(VALU_DEP_1)
	v_sub_nc_u32_e32 v9, v20, v3
	v_subrev_co_ci_u32_e64 v9, s0, s45, v9, vcc_lo
	v_sub_co_ci_u32_e32 v3, vcc_lo, v20, v3, vcc_lo
	v_sub_co_u32 v10, vcc_lo, v8, s44
	s_delay_alu instid0(VALU_DEP_1) | instskip(SKIP_3) | instid1(VALU_DEP_3)
	v_subrev_co_ci_u32_e64 v11, s0, 0, v9, vcc_lo
	v_cmp_le_u32_e64 s0, s44, v8
	v_subrev_co_ci_u32_e32 v9, vcc_lo, s45, v9, vcc_lo
	v_cmp_le_u32_e32 vcc_lo, s45, v3
	v_cndmask_b32_e64 v12, 0, -1, s0
	v_cmp_le_u32_e64 s0, s44, v10
	v_cndmask_b32_e64 v19, 0, -1, vcc_lo
	v_cmp_eq_u32_e32 vcc_lo, s45, v11
	s_delay_alu instid0(VALU_DEP_3) | instskip(SKIP_1) | instid1(VALU_DEP_1)
	v_cndmask_b32_e64 v13, 0, -1, s0
	v_cmp_le_u32_e64 s0, s45, v11
	v_cndmask_b32_e64 v18, 0, -1, s0
	v_cmp_eq_u32_e64 s0, s45, v3
	s_delay_alu instid0(VALU_DEP_2) | instskip(SKIP_2) | instid1(VALU_DEP_3)
	v_cndmask_b32_e32 v13, v18, v13, vcc_lo
	v_sub_co_u32 v18, vcc_lo, v10, s44
	v_subrev_co_ci_u32_e32 v9, vcc_lo, 0, v9, vcc_lo
	v_cmp_ne_u32_e32 vcc_lo, 0, v13
	v_cndmask_b32_e64 v12, v19, v12, s0
	s_delay_alu instid0(VALU_DEP_3) | instskip(NEXT) | instid1(VALU_DEP_2)
	v_dual_cndmask_b32 v9, v11, v9 :: v_dual_cndmask_b32 v10, v10, v18
	v_cmp_ne_u32_e32 vcc_lo, 0, v12
	s_delay_alu instid0(VALU_DEP_2) | instskip(NEXT) | instid1(VALU_DEP_1)
	v_dual_cndmask_b32 v8, v8, v10 :: v_dual_cndmask_b32 v3, v3, v9
	v_xor_b32_e32 v8, v8, v17
	s_delay_alu instid0(VALU_DEP_2) | instskip(NEXT) | instid1(VALU_DEP_2)
	v_xor_b32_e32 v3, v3, v17
	v_sub_co_u32 v8, vcc_lo, v8, v17
	s_delay_alu instid0(VALU_DEP_2)
	v_sub_co_ci_u32_e32 v9, vcc_lo, v3, v17, vcc_lo
.LBB19_9:                               ;   in Loop: Header=BB19_3 Depth=1
	s_and_not1_saveexec_b32 s0, s46
	s_cbranch_execz .LBB19_11
; %bb.10:                               ;   in Loop: Header=BB19_3 Depth=1
	v_cvt_f32_u32_e32 v3, s30
	s_sub_i32 s44, 0, s30
	v_mov_b32_e32 v9, v2
	s_delay_alu instid0(VALU_DEP_2) | instskip(SKIP_2) | instid1(VALU_DEP_1)
	v_rcp_iflag_f32_e32 v3, v3
	s_waitcnt_depctr 0xfff
	v_mul_f32_e32 v3, 0x4f7ffffe, v3
	v_cvt_u32_f32_e32 v3, v3
	s_delay_alu instid0(VALU_DEP_1) | instskip(NEXT) | instid1(VALU_DEP_1)
	v_mul_lo_u32 v8, s44, v3
	v_mul_hi_u32 v8, v3, v8
	s_delay_alu instid0(VALU_DEP_1) | instskip(NEXT) | instid1(VALU_DEP_1)
	v_add_nc_u32_e32 v3, v3, v8
	v_mul_hi_u32 v3, v6, v3
	s_delay_alu instid0(VALU_DEP_1) | instskip(NEXT) | instid1(VALU_DEP_1)
	v_mul_lo_u32 v3, v3, s30
	v_sub_nc_u32_e32 v3, v6, v3
	s_delay_alu instid0(VALU_DEP_1) | instskip(SKIP_1) | instid1(VALU_DEP_2)
	v_subrev_nc_u32_e32 v8, s30, v3
	v_cmp_le_u32_e32 vcc_lo, s30, v3
	v_cndmask_b32_e32 v3, v3, v8, vcc_lo
	s_delay_alu instid0(VALU_DEP_1) | instskip(SKIP_1) | instid1(VALU_DEP_2)
	v_subrev_nc_u32_e32 v8, s30, v3
	v_cmp_le_u32_e32 vcc_lo, s30, v3
	v_cndmask_b32_e32 v8, v3, v8, vcc_lo
.LBB19_11:                              ;   in Loop: Header=BB19_3 Depth=1
	s_or_b32 exec_lo, exec_lo, s0
	v_or_b32_e32 v3, s1, v15
                                        ; implicit-def: $vgpr12_vgpr13
	s_mov_b32 s0, exec_lo
	s_delay_alu instid0(VALU_DEP_1)
	v_cmpx_ne_u64_e32 0, v[2:3]
	s_xor_b32 s54, exec_lo, s0
	s_cbranch_execz .LBB19_13
; %bb.12:                               ;   in Loop: Header=BB19_3 Depth=1
	s_ashr_i32 s44, s1, 31
	s_delay_alu instid0(SALU_CYCLE_1) | instskip(SKIP_2) | instid1(SALU_CYCLE_1)
	s_add_u32 s46, s33, s44
	s_mov_b32 s45, s44
	s_addc_u32 s47, s1, s44
	s_xor_b64 s[46:47], s[46:47], s[44:45]
	s_delay_alu instid0(SALU_CYCLE_1) | instskip(SKIP_3) | instid1(VALU_DEP_1)
	v_cvt_f32_u32_e32 v3, s46
	v_cvt_f32_u32_e32 v10, s47
	s_sub_u32 s0, 0, s46
	s_subb_u32 s45, 0, s47
	v_fmac_f32_e32 v3, 0x4f800000, v10
	s_delay_alu instid0(VALU_DEP_1) | instskip(SKIP_2) | instid1(VALU_DEP_1)
	v_rcp_f32_e32 v3, v3
	s_waitcnt_depctr 0xfff
	v_mul_f32_e32 v3, 0x5f7ffffc, v3
	v_mul_f32_e32 v10, 0x2f800000, v3
	s_delay_alu instid0(VALU_DEP_1) | instskip(NEXT) | instid1(VALU_DEP_1)
	v_trunc_f32_e32 v10, v10
	v_fmac_f32_e32 v3, 0xcf800000, v10
	v_cvt_u32_f32_e32 v10, v10
	s_delay_alu instid0(VALU_DEP_2) | instskip(NEXT) | instid1(VALU_DEP_2)
	v_cvt_u32_f32_e32 v3, v3
	v_mul_lo_u32 v11, s0, v10
	s_delay_alu instid0(VALU_DEP_2) | instskip(SKIP_1) | instid1(VALU_DEP_2)
	v_mul_hi_u32 v12, s0, v3
	v_mul_lo_u32 v13, s45, v3
	v_add_nc_u32_e32 v11, v12, v11
	v_mul_lo_u32 v12, s0, v3
	s_delay_alu instid0(VALU_DEP_2) | instskip(NEXT) | instid1(VALU_DEP_2)
	v_add_nc_u32_e32 v11, v11, v13
	v_mul_hi_u32 v13, v3, v12
	s_delay_alu instid0(VALU_DEP_2)
	v_mul_lo_u32 v17, v3, v11
	v_mul_hi_u32 v18, v3, v11
	v_mul_hi_u32 v19, v10, v12
	v_mul_lo_u32 v12, v10, v12
	v_mul_hi_u32 v20, v10, v11
	v_mul_lo_u32 v11, v10, v11
	v_add_co_u32 v13, vcc_lo, v13, v17
	v_add_co_ci_u32_e32 v17, vcc_lo, 0, v18, vcc_lo
	s_delay_alu instid0(VALU_DEP_2) | instskip(NEXT) | instid1(VALU_DEP_2)
	v_add_co_u32 v12, vcc_lo, v13, v12
	v_add_co_ci_u32_e32 v12, vcc_lo, v17, v19, vcc_lo
	v_add_co_ci_u32_e32 v13, vcc_lo, 0, v20, vcc_lo
	v_ashrrev_i32_e32 v19, 31, v15
	s_delay_alu instid0(VALU_DEP_3) | instskip(NEXT) | instid1(VALU_DEP_3)
	v_add_co_u32 v11, vcc_lo, v12, v11
	v_add_co_ci_u32_e32 v12, vcc_lo, 0, v13, vcc_lo
	s_delay_alu instid0(VALU_DEP_2) | instskip(NEXT) | instid1(VALU_DEP_2)
	v_add_co_u32 v3, vcc_lo, v3, v11
	v_add_co_ci_u32_e32 v10, vcc_lo, v10, v12, vcc_lo
	s_delay_alu instid0(VALU_DEP_2) | instskip(SKIP_1) | instid1(VALU_DEP_3)
	v_mul_hi_u32 v11, s0, v3
	v_mul_lo_u32 v13, s45, v3
	v_mul_lo_u32 v12, s0, v10
	s_delay_alu instid0(VALU_DEP_1) | instskip(SKIP_1) | instid1(VALU_DEP_2)
	v_add_nc_u32_e32 v11, v11, v12
	v_mul_lo_u32 v12, s0, v3
	v_add_nc_u32_e32 v11, v11, v13
	s_delay_alu instid0(VALU_DEP_2) | instskip(NEXT) | instid1(VALU_DEP_2)
	v_mul_hi_u32 v13, v3, v12
	v_mul_lo_u32 v17, v3, v11
	v_mul_hi_u32 v18, v3, v11
	v_mul_hi_u32 v20, v10, v12
	v_mul_lo_u32 v12, v10, v12
	v_mul_hi_u32 v21, v10, v11
	v_mul_lo_u32 v11, v10, v11
	v_add_co_u32 v13, vcc_lo, v13, v17
	v_add_co_ci_u32_e32 v17, vcc_lo, 0, v18, vcc_lo
	s_delay_alu instid0(VALU_DEP_2) | instskip(NEXT) | instid1(VALU_DEP_2)
	v_add_co_u32 v12, vcc_lo, v13, v12
	v_add_co_ci_u32_e32 v12, vcc_lo, v17, v20, vcc_lo
	v_add_co_ci_u32_e32 v13, vcc_lo, 0, v21, vcc_lo
	v_add_co_u32 v17, vcc_lo, v16, v19
	v_add_co_ci_u32_e32 v18, vcc_lo, v15, v19, vcc_lo
	s_delay_alu instid0(VALU_DEP_4) | instskip(NEXT) | instid1(VALU_DEP_4)
	v_add_co_u32 v11, vcc_lo, v12, v11
	v_add_co_ci_u32_e32 v12, vcc_lo, 0, v13, vcc_lo
	s_delay_alu instid0(VALU_DEP_4) | instskip(NEXT) | instid1(VALU_DEP_3)
	v_xor_b32_e32 v20, v17, v19
	v_add_co_u32 v3, vcc_lo, v3, v11
	s_delay_alu instid0(VALU_DEP_3) | instskip(SKIP_1) | instid1(VALU_DEP_3)
	v_add_co_ci_u32_e32 v21, vcc_lo, v10, v12, vcc_lo
	v_xor_b32_e32 v22, v18, v19
	v_mul_hi_u32 v23, v20, v3
	s_delay_alu instid0(VALU_DEP_3) | instskip(NEXT) | instid1(VALU_DEP_3)
	v_mad_u64_u32 v[10:11], null, v20, v21, 0
	v_mad_u64_u32 v[12:13], null, v22, v3, 0
	;; [unrolled: 1-line block ×3, first 2 shown]
	s_delay_alu instid0(VALU_DEP_3) | instskip(NEXT) | instid1(VALU_DEP_4)
	v_add_co_u32 v3, vcc_lo, v23, v10
	v_add_co_ci_u32_e32 v10, vcc_lo, 0, v11, vcc_lo
	s_delay_alu instid0(VALU_DEP_2) | instskip(NEXT) | instid1(VALU_DEP_2)
	v_add_co_u32 v3, vcc_lo, v3, v12
	v_add_co_ci_u32_e32 v3, vcc_lo, v10, v13, vcc_lo
	v_add_co_ci_u32_e32 v10, vcc_lo, 0, v18, vcc_lo
	s_delay_alu instid0(VALU_DEP_2) | instskip(NEXT) | instid1(VALU_DEP_2)
	v_add_co_u32 v3, vcc_lo, v3, v17
	v_add_co_ci_u32_e32 v12, vcc_lo, 0, v10, vcc_lo
	s_delay_alu instid0(VALU_DEP_2) | instskip(SKIP_1) | instid1(VALU_DEP_3)
	v_mul_lo_u32 v13, s47, v3
	v_mad_u64_u32 v[10:11], null, s46, v3, 0
	v_mul_lo_u32 v17, s46, v12
	s_delay_alu instid0(VALU_DEP_2) | instskip(NEXT) | instid1(VALU_DEP_2)
	v_sub_co_u32 v10, vcc_lo, v20, v10
	v_add3_u32 v11, v11, v17, v13
	s_delay_alu instid0(VALU_DEP_1) | instskip(NEXT) | instid1(VALU_DEP_1)
	v_sub_nc_u32_e32 v13, v22, v11
	v_subrev_co_ci_u32_e64 v13, s0, s47, v13, vcc_lo
	v_add_co_u32 v17, s0, v3, 2
	s_delay_alu instid0(VALU_DEP_1) | instskip(SKIP_3) | instid1(VALU_DEP_3)
	v_add_co_ci_u32_e64 v18, s0, 0, v12, s0
	v_sub_co_u32 v20, s0, v10, s46
	v_sub_co_ci_u32_e32 v11, vcc_lo, v22, v11, vcc_lo
	v_subrev_co_ci_u32_e64 v13, s0, 0, v13, s0
	v_cmp_le_u32_e32 vcc_lo, s46, v20
	s_delay_alu instid0(VALU_DEP_3) | instskip(SKIP_1) | instid1(VALU_DEP_4)
	v_cmp_eq_u32_e64 s0, s47, v11
	v_cndmask_b32_e64 v20, 0, -1, vcc_lo
	v_cmp_le_u32_e32 vcc_lo, s47, v13
	v_cndmask_b32_e64 v21, 0, -1, vcc_lo
	v_cmp_le_u32_e32 vcc_lo, s46, v10
	;; [unrolled: 2-line block ×3, first 2 shown]
	v_cndmask_b32_e64 v22, 0, -1, vcc_lo
	v_cmp_eq_u32_e32 vcc_lo, s47, v13
	s_delay_alu instid0(VALU_DEP_2) | instskip(SKIP_3) | instid1(VALU_DEP_3)
	v_cndmask_b32_e64 v10, v22, v10, s0
	v_cndmask_b32_e32 v13, v21, v20, vcc_lo
	v_add_co_u32 v20, vcc_lo, v3, 1
	v_add_co_ci_u32_e32 v21, vcc_lo, 0, v12, vcc_lo
	v_cmp_ne_u32_e32 vcc_lo, 0, v13
	s_delay_alu instid0(VALU_DEP_2) | instskip(NEXT) | instid1(VALU_DEP_4)
	v_cndmask_b32_e32 v11, v21, v18, vcc_lo
	v_cndmask_b32_e32 v13, v20, v17, vcc_lo
	v_cmp_ne_u32_e32 vcc_lo, 0, v10
	v_xor_b32_e32 v10, s44, v19
	s_delay_alu instid0(VALU_DEP_3) | instskip(SKIP_1) | instid1(VALU_DEP_2)
	v_cndmask_b32_e32 v3, v3, v13, vcc_lo
	v_cndmask_b32_e32 v11, v12, v11, vcc_lo
	v_xor_b32_e32 v3, v3, v10
	s_delay_alu instid0(VALU_DEP_2) | instskip(NEXT) | instid1(VALU_DEP_2)
	v_xor_b32_e32 v11, v11, v10
	v_sub_co_u32 v12, vcc_lo, v3, v10
	s_delay_alu instid0(VALU_DEP_2)
	v_sub_co_ci_u32_e32 v13, vcc_lo, v11, v10, vcc_lo
.LBB19_13:                              ;   in Loop: Header=BB19_3 Depth=1
	s_and_not1_saveexec_b32 s0, s54
	s_cbranch_execz .LBB19_15
; %bb.14:                               ;   in Loop: Header=BB19_3 Depth=1
	v_cvt_f32_u32_e32 v3, s33
	s_sub_i32 s44, 0, s33
	v_mov_b32_e32 v13, v2
	s_delay_alu instid0(VALU_DEP_2) | instskip(SKIP_2) | instid1(VALU_DEP_1)
	v_rcp_iflag_f32_e32 v3, v3
	s_waitcnt_depctr 0xfff
	v_mul_f32_e32 v3, 0x4f7ffffe, v3
	v_cvt_u32_f32_e32 v3, v3
	s_delay_alu instid0(VALU_DEP_1) | instskip(NEXT) | instid1(VALU_DEP_1)
	v_mul_lo_u32 v10, s44, v3
	v_mul_hi_u32 v10, v3, v10
	s_delay_alu instid0(VALU_DEP_1) | instskip(NEXT) | instid1(VALU_DEP_1)
	v_add_nc_u32_e32 v3, v3, v10
	v_mul_hi_u32 v3, v1, v3
	s_delay_alu instid0(VALU_DEP_1) | instskip(SKIP_1) | instid1(VALU_DEP_2)
	v_mul_lo_u32 v10, v3, s33
	v_add_nc_u32_e32 v11, 1, v3
	v_sub_nc_u32_e32 v10, v1, v10
	s_delay_alu instid0(VALU_DEP_1) | instskip(SKIP_1) | instid1(VALU_DEP_2)
	v_subrev_nc_u32_e32 v12, s33, v10
	v_cmp_le_u32_e32 vcc_lo, s33, v10
	v_dual_cndmask_b32 v10, v10, v12 :: v_dual_cndmask_b32 v3, v3, v11
	s_delay_alu instid0(VALU_DEP_1) | instskip(NEXT) | instid1(VALU_DEP_2)
	v_cmp_le_u32_e32 vcc_lo, s33, v10
	v_add_nc_u32_e32 v11, 1, v3
	s_delay_alu instid0(VALU_DEP_1)
	v_cndmask_b32_e32 v12, v3, v11, vcc_lo
.LBB19_15:                              ;   in Loop: Header=BB19_3 Depth=1
	s_or_b32 exec_lo, exec_lo, s0
	s_delay_alu instid0(VALU_DEP_1) | instskip(SKIP_1) | instid1(VALU_DEP_1)
	v_or_b32_e32 v3, s41, v13
                                        ; implicit-def: $vgpr10_vgpr11
	s_mov_b32 s0, exec_lo
	v_cmpx_ne_u64_e32 0, v[2:3]
	s_xor_b32 s46, exec_lo, s0
	s_cbranch_execz .LBB19_17
; %bb.16:                               ;   in Loop: Header=BB19_3 Depth=1
	s_ashr_i32 s44, s41, 31
	s_delay_alu instid0(SALU_CYCLE_1) | instskip(SKIP_2) | instid1(SALU_CYCLE_1)
	s_add_u32 s54, s40, s44
	s_mov_b32 s45, s44
	s_addc_u32 s55, s41, s44
	s_xor_b64 s[44:45], s[54:55], s[44:45]
	s_delay_alu instid0(SALU_CYCLE_1) | instskip(SKIP_3) | instid1(VALU_DEP_1)
	v_cvt_f32_u32_e32 v3, s44
	v_cvt_f32_u32_e32 v10, s45
	s_sub_u32 s0, 0, s44
	s_subb_u32 s47, 0, s45
	v_fmac_f32_e32 v3, 0x4f800000, v10
	s_delay_alu instid0(VALU_DEP_1) | instskip(SKIP_2) | instid1(VALU_DEP_1)
	v_rcp_f32_e32 v3, v3
	s_waitcnt_depctr 0xfff
	v_mul_f32_e32 v3, 0x5f7ffffc, v3
	v_mul_f32_e32 v10, 0x2f800000, v3
	s_delay_alu instid0(VALU_DEP_1) | instskip(NEXT) | instid1(VALU_DEP_1)
	v_trunc_f32_e32 v10, v10
	v_fmac_f32_e32 v3, 0xcf800000, v10
	v_cvt_u32_f32_e32 v10, v10
	s_delay_alu instid0(VALU_DEP_2) | instskip(NEXT) | instid1(VALU_DEP_2)
	v_cvt_u32_f32_e32 v3, v3
	v_mul_lo_u32 v11, s0, v10
	s_delay_alu instid0(VALU_DEP_2) | instskip(SKIP_1) | instid1(VALU_DEP_2)
	v_mul_hi_u32 v17, s0, v3
	v_mul_lo_u32 v18, s47, v3
	v_add_nc_u32_e32 v11, v17, v11
	v_mul_lo_u32 v17, s0, v3
	s_delay_alu instid0(VALU_DEP_2) | instskip(NEXT) | instid1(VALU_DEP_2)
	v_add_nc_u32_e32 v11, v11, v18
	v_mul_hi_u32 v18, v3, v17
	s_delay_alu instid0(VALU_DEP_2)
	v_mul_lo_u32 v19, v3, v11
	v_mul_hi_u32 v20, v3, v11
	v_mul_hi_u32 v21, v10, v17
	v_mul_lo_u32 v17, v10, v17
	v_mul_hi_u32 v22, v10, v11
	v_mul_lo_u32 v11, v10, v11
	v_add_co_u32 v18, vcc_lo, v18, v19
	v_add_co_ci_u32_e32 v19, vcc_lo, 0, v20, vcc_lo
	s_delay_alu instid0(VALU_DEP_2) | instskip(NEXT) | instid1(VALU_DEP_2)
	v_add_co_u32 v17, vcc_lo, v18, v17
	v_add_co_ci_u32_e32 v17, vcc_lo, v19, v21, vcc_lo
	v_add_co_ci_u32_e32 v18, vcc_lo, 0, v22, vcc_lo
	v_ashrrev_i32_e32 v21, 31, v13
	s_delay_alu instid0(VALU_DEP_3) | instskip(NEXT) | instid1(VALU_DEP_3)
	v_add_co_u32 v11, vcc_lo, v17, v11
	v_add_co_ci_u32_e32 v17, vcc_lo, 0, v18, vcc_lo
	s_delay_alu instid0(VALU_DEP_2) | instskip(NEXT) | instid1(VALU_DEP_2)
	v_add_co_u32 v3, vcc_lo, v3, v11
	v_add_co_ci_u32_e32 v10, vcc_lo, v10, v17, vcc_lo
	s_delay_alu instid0(VALU_DEP_2) | instskip(SKIP_1) | instid1(VALU_DEP_3)
	v_mul_hi_u32 v11, s0, v3
	v_mul_lo_u32 v18, s47, v3
	v_mul_lo_u32 v17, s0, v10
	s_delay_alu instid0(VALU_DEP_1) | instskip(SKIP_1) | instid1(VALU_DEP_2)
	v_add_nc_u32_e32 v11, v11, v17
	v_mul_lo_u32 v17, s0, v3
	v_add_nc_u32_e32 v11, v11, v18
	s_delay_alu instid0(VALU_DEP_2) | instskip(NEXT) | instid1(VALU_DEP_2)
	v_mul_hi_u32 v18, v3, v17
	v_mul_lo_u32 v19, v3, v11
	v_mul_hi_u32 v20, v3, v11
	v_mul_hi_u32 v22, v10, v17
	v_mul_lo_u32 v17, v10, v17
	v_mul_hi_u32 v23, v10, v11
	v_mul_lo_u32 v11, v10, v11
	v_add_co_u32 v18, vcc_lo, v18, v19
	v_add_co_ci_u32_e32 v19, vcc_lo, 0, v20, vcc_lo
	s_delay_alu instid0(VALU_DEP_2) | instskip(NEXT) | instid1(VALU_DEP_2)
	v_add_co_u32 v17, vcc_lo, v18, v17
	v_add_co_ci_u32_e32 v17, vcc_lo, v19, v22, vcc_lo
	v_add_co_ci_u32_e32 v18, vcc_lo, 0, v23, vcc_lo
	v_add_co_u32 v12, vcc_lo, v12, v21
	v_add_co_ci_u32_e32 v13, vcc_lo, v13, v21, vcc_lo
	s_delay_alu instid0(VALU_DEP_4) | instskip(NEXT) | instid1(VALU_DEP_4)
	v_add_co_u32 v11, vcc_lo, v17, v11
	v_add_co_ci_u32_e32 v17, vcc_lo, 0, v18, vcc_lo
	s_delay_alu instid0(VALU_DEP_4) | instskip(NEXT) | instid1(VALU_DEP_3)
	v_xor_b32_e32 v19, v12, v21
	v_add_co_u32 v3, vcc_lo, v3, v11
	s_delay_alu instid0(VALU_DEP_3) | instskip(SKIP_1) | instid1(VALU_DEP_3)
	v_add_co_ci_u32_e32 v20, vcc_lo, v10, v17, vcc_lo
	v_xor_b32_e32 v22, v13, v21
	v_mul_hi_u32 v23, v19, v3
	s_delay_alu instid0(VALU_DEP_3) | instskip(NEXT) | instid1(VALU_DEP_3)
	v_mad_u64_u32 v[10:11], null, v19, v20, 0
	v_mad_u64_u32 v[12:13], null, v22, v3, 0
	;; [unrolled: 1-line block ×3, first 2 shown]
	s_delay_alu instid0(VALU_DEP_3) | instskip(NEXT) | instid1(VALU_DEP_4)
	v_add_co_u32 v3, vcc_lo, v23, v10
	v_add_co_ci_u32_e32 v10, vcc_lo, 0, v11, vcc_lo
	s_delay_alu instid0(VALU_DEP_2) | instskip(NEXT) | instid1(VALU_DEP_2)
	v_add_co_u32 v3, vcc_lo, v3, v12
	v_add_co_ci_u32_e32 v3, vcc_lo, v10, v13, vcc_lo
	v_add_co_ci_u32_e32 v10, vcc_lo, 0, v18, vcc_lo
	s_delay_alu instid0(VALU_DEP_2) | instskip(NEXT) | instid1(VALU_DEP_2)
	v_add_co_u32 v3, vcc_lo, v3, v17
	v_add_co_ci_u32_e32 v12, vcc_lo, 0, v10, vcc_lo
	s_delay_alu instid0(VALU_DEP_2) | instskip(SKIP_1) | instid1(VALU_DEP_3)
	v_mul_lo_u32 v13, s45, v3
	v_mad_u64_u32 v[10:11], null, s44, v3, 0
	v_mul_lo_u32 v3, s44, v12
	s_delay_alu instid0(VALU_DEP_2) | instskip(NEXT) | instid1(VALU_DEP_2)
	v_sub_co_u32 v10, vcc_lo, v19, v10
	v_add3_u32 v3, v11, v3, v13
	s_delay_alu instid0(VALU_DEP_1) | instskip(NEXT) | instid1(VALU_DEP_1)
	v_sub_nc_u32_e32 v11, v22, v3
	v_subrev_co_ci_u32_e64 v11, s0, s45, v11, vcc_lo
	v_sub_co_ci_u32_e32 v3, vcc_lo, v22, v3, vcc_lo
	v_sub_co_u32 v12, vcc_lo, v10, s44
	s_delay_alu instid0(VALU_DEP_1) | instskip(SKIP_3) | instid1(VALU_DEP_3)
	v_subrev_co_ci_u32_e64 v13, s0, 0, v11, vcc_lo
	v_cmp_le_u32_e64 s0, s44, v10
	v_subrev_co_ci_u32_e32 v11, vcc_lo, s45, v11, vcc_lo
	v_cmp_le_u32_e32 vcc_lo, s45, v3
	v_cndmask_b32_e64 v17, 0, -1, s0
	v_cmp_le_u32_e64 s0, s44, v12
	v_cndmask_b32_e64 v20, 0, -1, vcc_lo
	v_cmp_eq_u32_e32 vcc_lo, s45, v13
	s_delay_alu instid0(VALU_DEP_3) | instskip(SKIP_1) | instid1(VALU_DEP_1)
	v_cndmask_b32_e64 v18, 0, -1, s0
	v_cmp_le_u32_e64 s0, s45, v13
	v_cndmask_b32_e64 v19, 0, -1, s0
	v_cmp_eq_u32_e64 s0, s45, v3
	s_delay_alu instid0(VALU_DEP_2) | instskip(SKIP_2) | instid1(VALU_DEP_3)
	v_cndmask_b32_e32 v18, v19, v18, vcc_lo
	v_sub_co_u32 v19, vcc_lo, v12, s44
	v_subrev_co_ci_u32_e32 v11, vcc_lo, 0, v11, vcc_lo
	v_cmp_ne_u32_e32 vcc_lo, 0, v18
	v_cndmask_b32_e64 v17, v20, v17, s0
	s_delay_alu instid0(VALU_DEP_3) | instskip(SKIP_1) | instid1(VALU_DEP_3)
	v_cndmask_b32_e32 v11, v13, v11, vcc_lo
	v_cndmask_b32_e32 v12, v12, v19, vcc_lo
	v_cmp_ne_u32_e32 vcc_lo, 0, v17
	s_delay_alu instid0(VALU_DEP_2) | instskip(NEXT) | instid1(VALU_DEP_1)
	v_dual_cndmask_b32 v10, v10, v12 :: v_dual_cndmask_b32 v3, v3, v11
                                        ; implicit-def: $vgpr12_vgpr13
	v_xor_b32_e32 v10, v10, v21
	s_delay_alu instid0(VALU_DEP_2) | instskip(NEXT) | instid1(VALU_DEP_2)
	v_xor_b32_e32 v3, v3, v21
	v_sub_co_u32 v10, vcc_lo, v10, v21
	s_delay_alu instid0(VALU_DEP_2)
	v_sub_co_ci_u32_e32 v11, vcc_lo, v3, v21, vcc_lo
.LBB19_17:                              ;   in Loop: Header=BB19_3 Depth=1
	s_and_not1_saveexec_b32 s0, s46
	s_cbranch_execz .LBB19_19
; %bb.18:                               ;   in Loop: Header=BB19_3 Depth=1
	v_cvt_f32_u32_e32 v3, s40
	s_sub_i32 s44, 0, s40
	v_mov_b32_e32 v11, v2
	s_delay_alu instid0(VALU_DEP_2) | instskip(SKIP_2) | instid1(VALU_DEP_1)
	v_rcp_iflag_f32_e32 v3, v3
	s_waitcnt_depctr 0xfff
	v_mul_f32_e32 v3, 0x4f7ffffe, v3
	v_cvt_u32_f32_e32 v3, v3
	s_delay_alu instid0(VALU_DEP_1) | instskip(NEXT) | instid1(VALU_DEP_1)
	v_mul_lo_u32 v10, s44, v3
	v_mul_hi_u32 v10, v3, v10
	s_delay_alu instid0(VALU_DEP_1) | instskip(NEXT) | instid1(VALU_DEP_1)
	v_add_nc_u32_e32 v3, v3, v10
	v_mul_hi_u32 v3, v12, v3
	s_delay_alu instid0(VALU_DEP_1) | instskip(NEXT) | instid1(VALU_DEP_1)
	v_mul_lo_u32 v3, v3, s40
	v_sub_nc_u32_e32 v3, v12, v3
	s_delay_alu instid0(VALU_DEP_1) | instskip(SKIP_1) | instid1(VALU_DEP_2)
	v_subrev_nc_u32_e32 v10, s40, v3
	v_cmp_le_u32_e32 vcc_lo, s40, v3
	v_cndmask_b32_e32 v3, v3, v10, vcc_lo
	s_delay_alu instid0(VALU_DEP_1) | instskip(SKIP_1) | instid1(VALU_DEP_2)
	v_subrev_nc_u32_e32 v10, s40, v3
	v_cmp_le_u32_e32 vcc_lo, s40, v3
	v_cndmask_b32_e32 v10, v3, v10, vcc_lo
.LBB19_19:                              ;   in Loop: Header=BB19_3 Depth=1
	s_or_b32 exec_lo, exec_lo, s0
	v_mul_lo_u32 v3, v7, s28
	v_mul_lo_u32 v7, v6, s29
	v_mad_u64_u32 v[12:13], null, v6, s28, 0
	v_mul_lo_u32 v19, s7, v8
	v_mul_lo_u32 v20, s6, v9
	;; [unrolled: 1-line block ×4, first 2 shown]
	s_mov_b32 s44, -1
	s_mov_b32 s0, -1
	v_add3_u32 v6, v13, v7, v3
	v_sub_co_u32 v3, vcc_lo, v16, v12
	s_mov_b32 s45, exec_lo
                                        ; implicit-def: $sgpr47
	s_delay_alu instid0(VALU_DEP_2) | instskip(NEXT) | instid1(VALU_DEP_2)
	v_sub_co_ci_u32_e32 v12, vcc_lo, v15, v6, vcc_lo
	v_mul_lo_u32 v13, s5, v3
	v_mad_u64_u32 v[6:7], null, s4, v3, 0
	s_delay_alu instid0(VALU_DEP_3) | instskip(SKIP_1) | instid1(VALU_DEP_2)
	v_mul_lo_u32 v17, s4, v12
	v_mad_u64_u32 v[15:16], null, s6, v8, 0
	v_add3_u32 v7, v7, v17, v13
	v_mad_u64_u32 v[17:18], null, s8, v10, 0
	s_delay_alu instid0(VALU_DEP_3) | instskip(NEXT) | instid1(VALU_DEP_3)
	v_add3_u32 v16, v16, v20, v19
	v_lshlrev_b64 v[6:7], 3, v[6:7]
	s_delay_alu instid0(VALU_DEP_2) | instskip(NEXT) | instid1(VALU_DEP_4)
	v_lshlrev_b64 v[15:16], 3, v[15:16]
	v_add3_u32 v18, v18, v22, v21
	s_delay_alu instid0(VALU_DEP_3) | instskip(NEXT) | instid1(VALU_DEP_4)
	v_add_co_u32 v13, vcc_lo, s34, v6
	v_add_co_ci_u32_e32 v19, vcc_lo, s35, v7, vcc_lo
	s_delay_alu instid0(VALU_DEP_3) | instskip(NEXT) | instid1(VALU_DEP_3)
	v_lshlrev_b64 v[6:7], 3, v[17:18]
	v_add_co_u32 v13, vcc_lo, v13, v15
	s_delay_alu instid0(VALU_DEP_3) | instskip(NEXT) | instid1(VALU_DEP_2)
	v_add_co_ci_u32_e32 v15, vcc_lo, v19, v16, vcc_lo
	v_add_co_u32 v6, vcc_lo, v13, v6
	s_delay_alu instid0(VALU_DEP_2)
	v_add_co_ci_u32_e32 v7, vcc_lo, v15, v7, vcc_lo
	global_load_b64 v[6:7], v[6:7], off
	s_waitcnt vmcnt(0)
	v_cmpx_ne_u64_e64 s[38:39], v[6:7]
	s_cbranch_execz .LBB19_26
; %bb.20:                               ;   in Loop: Header=BB19_3 Depth=1
	v_cmp_lt_i64_e32 vcc_lo, -1, v[6:7]
	v_cmp_gt_i64_e64 s0, s[42:43], v[6:7]
	s_mov_b32 s46, 0
	s_delay_alu instid0(VALU_DEP_1) | instskip(NEXT) | instid1(SALU_CYCLE_1)
	s_and_b32 s47, vcc_lo, s0
	s_and_saveexec_b32 s0, s47
	s_cbranch_execz .LBB19_25
; %bb.21:                               ;   in Loop: Header=BB19_3 Depth=1
	s_and_not1_b32 vcc_lo, exec_lo, s48
	s_cbranch_vccnz .LBB19_23
; %bb.22:                               ;   in Loop: Header=BB19_3 Depth=1
	v_lshlrev_b64 v[15:16], 1, v[6:7]
	s_delay_alu instid0(VALU_DEP_1) | instskip(NEXT) | instid1(VALU_DEP_2)
	v_add_co_u32 v15, vcc_lo, s36, v15
	v_add_co_ci_u32_e32 v16, vcc_lo, s37, v16, vcc_lo
	global_load_u16 v13, v[15:16], off
	s_branch .LBB19_24
.LBB19_23:                              ;   in Loop: Header=BB19_3 Depth=1
	v_mov_b32_e32 v13, 0x3f80
.LBB19_24:                              ;   in Loop: Header=BB19_3 Depth=1
	v_mul_lo_u32 v17, s13, v3
	v_mul_lo_u32 v18, s12, v12
	v_mad_u64_u32 v[15:16], null, s12, v3, 0
	v_mul_lo_u32 v21, s15, v8
	v_mul_lo_u32 v22, s14, v9
	v_mul_lo_u32 v23, s17, v10
	v_mul_lo_u32 v24, s16, v11
	v_mad_u64_u32 v[19:20], null, s16, v10, 0
	v_add3_u32 v16, v16, v18, v17
	v_mad_u64_u32 v[17:18], null, s14, v8, 0
	v_mul_lo_u32 v11, s26, v11
	s_mov_b32 s46, exec_lo
	s_delay_alu instid0(VALU_DEP_3)
	v_lshlrev_b64 v[15:16], 1, v[15:16]
	v_add3_u32 v20, v20, v24, v23
	v_mul_lo_u32 v24, s24, v9
	v_mul_lo_u32 v23, s25, v8
	v_add3_u32 v18, v18, v22, v21
	v_add_co_u32 v21, vcc_lo, s10, v15
	v_add_co_ci_u32_e32 v22, vcc_lo, s11, v16, vcc_lo
	s_delay_alu instid0(VALU_DEP_3) | instskip(SKIP_3) | instid1(VALU_DEP_4)
	v_lshlrev_b64 v[17:18], 1, v[17:18]
	v_lshlrev_b64 v[15:16], 1, v[19:20]
	v_mul_lo_u32 v19, s21, v3
	v_mul_lo_u32 v20, s20, v12
	v_add_co_u32 v17, vcc_lo, v21, v17
	v_add_co_ci_u32_e32 v18, vcc_lo, v22, v18, vcc_lo
	v_mul_lo_u32 v22, s22, v7
	s_delay_alu instid0(VALU_DEP_3) | instskip(NEXT) | instid1(VALU_DEP_3)
	v_add_co_u32 v15, vcc_lo, v17, v15
	v_add_co_ci_u32_e32 v16, vcc_lo, v18, v16, vcc_lo
	s_waitcnt vmcnt(0)
	v_lshlrev_b32_e32 v18, 16, v13
	v_mad_u64_u32 v[12:13], null, s20, v3, 0
	global_load_u16 v17, v[15:16], off
	v_mul_lo_u32 v3, s23, v6
	v_xor_b32_e32 v21, 0x80000000, v18
	v_cmp_o_f32_e32 vcc_lo, v18, v18
	v_mad_u64_u32 v[15:16], null, s22, v6, 0
	v_add3_u32 v13, v13, v20, v19
	s_delay_alu instid0(VALU_DEP_4) | instskip(NEXT) | instid1(VALU_DEP_1)
	v_bfe_u32 v7, v21, 16, 1
	v_add3_u32 v9, v21, v7, 0x7fff
	v_mad_u64_u32 v[6:7], null, s24, v8, 0
	v_mul_lo_u32 v21, s27, v10
	v_add3_u32 v16, v16, v22, v3
	s_delay_alu instid0(VALU_DEP_4) | instskip(SKIP_2) | instid1(VALU_DEP_3)
	v_and_b32_e32 v25, 0xffff0000, v9
	v_mad_u64_u32 v[8:9], null, s26, v10, 0
	v_add3_u32 v7, v7, v24, v23
	v_cndmask_b32_e32 v10, 0x7fc00000, v25, vcc_lo
	s_delay_alu instid0(VALU_DEP_3) | instskip(NEXT) | instid1(VALU_DEP_3)
	v_add3_u32 v9, v9, v11, v21
	v_lshlrev_b64 v[6:7], 1, v[6:7]
	s_delay_alu instid0(VALU_DEP_2) | instskip(SKIP_2) | instid1(VALU_DEP_1)
	v_lshlrev_b64 v[8:9], 1, v[8:9]
	s_waitcnt vmcnt(0)
	v_lshlrev_b32_e32 v17, 16, v17
	v_mul_f32_e32 v3, v10, v17
	v_lshlrev_b64 v[10:11], 1, v[12:13]
	v_lshlrev_b64 v[12:13], 1, v[15:16]
	s_delay_alu instid0(VALU_DEP_3) | instskip(NEXT) | instid1(VALU_DEP_3)
	v_bfe_u32 v15, v3, 16, 1
	v_add_co_u32 v10, vcc_lo, s18, v10
	s_delay_alu instid0(VALU_DEP_4) | instskip(NEXT) | instid1(VALU_DEP_3)
	v_add_co_ci_u32_e32 v11, vcc_lo, s19, v11, vcc_lo
	v_add3_u32 v15, v3, v15, 0x7fff
	s_delay_alu instid0(VALU_DEP_3) | instskip(NEXT) | instid1(VALU_DEP_3)
	v_add_co_u32 v10, vcc_lo, v10, v12
	v_add_co_ci_u32_e32 v11, vcc_lo, v11, v13, vcc_lo
	s_delay_alu instid0(VALU_DEP_3) | instskip(NEXT) | instid1(VALU_DEP_3)
	v_lshrrev_b32_e32 v12, 16, v15
	v_add_co_u32 v6, vcc_lo, v10, v6
	s_delay_alu instid0(VALU_DEP_3) | instskip(SKIP_1) | instid1(VALU_DEP_4)
	v_add_co_ci_u32_e32 v7, vcc_lo, v11, v7, vcc_lo
	v_cmp_o_f32_e32 vcc_lo, v3, v3
	v_cndmask_b32_e32 v3, 0x7fc0, v12, vcc_lo
	s_delay_alu instid0(VALU_DEP_4) | instskip(NEXT) | instid1(VALU_DEP_4)
	v_add_co_u32 v6, vcc_lo, v6, v8
	v_add_co_ci_u32_e32 v7, vcc_lo, v7, v9, vcc_lo
	global_store_b16 v[6:7], v3, off
.LBB19_25:                              ;   in Loop: Header=BB19_3 Depth=1
	s_or_b32 exec_lo, exec_lo, s0
	s_mov_b32 s47, -1
	s_or_not1_b32 s0, s46, exec_lo
.LBB19_26:                              ;   in Loop: Header=BB19_3 Depth=1
	s_or_b32 exec_lo, exec_lo, s45
	s_delay_alu instid0(SALU_CYCLE_1) | instskip(SKIP_1) | instid1(SALU_CYCLE_1)
	s_and_not1_b32 s45, s53, exec_lo
	s_and_b32 s46, s47, exec_lo
	s_or_b32 s53, s45, s46
	s_and_saveexec_b32 s45, s0
	s_cbranch_execz .LBB19_2
; %bb.27:                               ;   in Loop: Header=BB19_3 Depth=1
	v_add_co_u32 v4, vcc_lo, v4, s50
	v_add_co_ci_u32_e32 v5, vcc_lo, 0, v5, vcc_lo
	v_add_co_u32 v0, s0, v0, 0
	s_delay_alu instid0(VALU_DEP_1) | instskip(NEXT) | instid1(VALU_DEP_3)
	v_add_co_ci_u32_e64 v1, s0, s52, v1, s0
	v_cmp_le_i64_e32 vcc_lo, s[2:3], v[4:5]
	s_and_not1_b32 s53, s53, exec_lo
	s_or_not1_b32 s44, vcc_lo, exec_lo
	s_branch .LBB19_2
.LBB19_28:
	s_or_b32 exec_lo, exec_lo, s49
	s_and_saveexec_b32 s0, s51
	s_delay_alu instid0(SALU_CYCLE_1)
	s_xor_b32 s0, exec_lo, s0
	s_cbranch_execnz .LBB19_30
.LBB19_29:
	s_nop 0
	s_sendmsg sendmsg(MSG_DEALLOC_VGPRS)
	s_endpgm
.LBB19_30:
	s_cbranch_execnz .LBB19_32
; %bb.31:
	; divergent unreachable
	s_nop 0
	s_sendmsg sendmsg(MSG_DEALLOC_VGPRS)
	s_endpgm
.LBB19_32:
	s_trap 2
	s_sendmsg_rtn_b32 s0, sendmsg(MSG_RTN_GET_DOORBELL)
	s_mov_b32 ttmp2, m0
	s_waitcnt lgkmcnt(0)
	s_and_b32 s0, s0, 0x3ff
	s_delay_alu instid0(SALU_CYCLE_1) | instskip(NEXT) | instid1(SALU_CYCLE_1)
	s_bitset1_b32 s0, 10
	s_mov_b32 m0, s0
	s_sendmsg sendmsg(MSG_INTERRUPT)
	s_mov_b32 m0, ttmp2
.LBB19_33:                              ; =>This Inner Loop Header: Depth=1
	s_sethalt 5
	s_branch .LBB19_33
	.section	.rodata,"a",@progbits
	.p2align	6, 0x0
	.amdhsa_kernel _ZN2at6native12_GLOBAL__N_136nll_loss2d_backward_no_reduce_kernelIN3c108BFloat16EEEvlN5torch10headeronly6detail27GenericPackedTensorAccessorINS7_14TensorAccessorINS3_8ArrayRefIlEElLm2ENS6_16DefaultPtrTraitsElEENS_6detail16IndexBoundsCheckILm3ElEElLm3ESC_lEENS8_INS9_ISB_T_Lm2ESC_lEESG_SI_Lm3ESC_lEENS8_INS9_ISB_SI_Lm3ESC_lEENSF_ILm4ElEESI_Lm4ESC_lEEPKSI_l
		.amdhsa_group_segment_fixed_size 0
		.amdhsa_private_segment_fixed_size 0
		.amdhsa_kernarg_size 464
		.amdhsa_user_sgpr_count 15
		.amdhsa_user_sgpr_dispatch_ptr 0
		.amdhsa_user_sgpr_queue_ptr 0
		.amdhsa_user_sgpr_kernarg_segment_ptr 1
		.amdhsa_user_sgpr_dispatch_id 0
		.amdhsa_user_sgpr_private_segment_size 0
		.amdhsa_wavefront_size32 1
		.amdhsa_uses_dynamic_stack 0
		.amdhsa_enable_private_segment 0
		.amdhsa_system_sgpr_workgroup_id_x 1
		.amdhsa_system_sgpr_workgroup_id_y 0
		.amdhsa_system_sgpr_workgroup_id_z 0
		.amdhsa_system_sgpr_workgroup_info 0
		.amdhsa_system_vgpr_workitem_id 0
		.amdhsa_next_free_vgpr 26
		.amdhsa_next_free_sgpr 56
		.amdhsa_reserve_vcc 1
		.amdhsa_float_round_mode_32 0
		.amdhsa_float_round_mode_16_64 0
		.amdhsa_float_denorm_mode_32 3
		.amdhsa_float_denorm_mode_16_64 3
		.amdhsa_dx10_clamp 1
		.amdhsa_ieee_mode 1
		.amdhsa_fp16_overflow 0
		.amdhsa_workgroup_processor_mode 1
		.amdhsa_memory_ordered 1
		.amdhsa_forward_progress 0
		.amdhsa_shared_vgpr_count 0
		.amdhsa_exception_fp_ieee_invalid_op 0
		.amdhsa_exception_fp_denorm_src 0
		.amdhsa_exception_fp_ieee_div_zero 0
		.amdhsa_exception_fp_ieee_overflow 0
		.amdhsa_exception_fp_ieee_underflow 0
		.amdhsa_exception_fp_ieee_inexact 0
		.amdhsa_exception_int_div_zero 0
	.end_amdhsa_kernel
	.section	.text._ZN2at6native12_GLOBAL__N_136nll_loss2d_backward_no_reduce_kernelIN3c108BFloat16EEEvlN5torch10headeronly6detail27GenericPackedTensorAccessorINS7_14TensorAccessorINS3_8ArrayRefIlEElLm2ENS6_16DefaultPtrTraitsElEENS_6detail16IndexBoundsCheckILm3ElEElLm3ESC_lEENS8_INS9_ISB_T_Lm2ESC_lEESG_SI_Lm3ESC_lEENS8_INS9_ISB_SI_Lm3ESC_lEENSF_ILm4ElEESI_Lm4ESC_lEEPKSI_l,"axG",@progbits,_ZN2at6native12_GLOBAL__N_136nll_loss2d_backward_no_reduce_kernelIN3c108BFloat16EEEvlN5torch10headeronly6detail27GenericPackedTensorAccessorINS7_14TensorAccessorINS3_8ArrayRefIlEElLm2ENS6_16DefaultPtrTraitsElEENS_6detail16IndexBoundsCheckILm3ElEElLm3ESC_lEENS8_INS9_ISB_T_Lm2ESC_lEESG_SI_Lm3ESC_lEENS8_INS9_ISB_SI_Lm3ESC_lEENSF_ILm4ElEESI_Lm4ESC_lEEPKSI_l,comdat
.Lfunc_end19:
	.size	_ZN2at6native12_GLOBAL__N_136nll_loss2d_backward_no_reduce_kernelIN3c108BFloat16EEEvlN5torch10headeronly6detail27GenericPackedTensorAccessorINS7_14TensorAccessorINS3_8ArrayRefIlEElLm2ENS6_16DefaultPtrTraitsElEENS_6detail16IndexBoundsCheckILm3ElEElLm3ESC_lEENS8_INS9_ISB_T_Lm2ESC_lEESG_SI_Lm3ESC_lEENS8_INS9_ISB_SI_Lm3ESC_lEENSF_ILm4ElEESI_Lm4ESC_lEEPKSI_l, .Lfunc_end19-_ZN2at6native12_GLOBAL__N_136nll_loss2d_backward_no_reduce_kernelIN3c108BFloat16EEEvlN5torch10headeronly6detail27GenericPackedTensorAccessorINS7_14TensorAccessorINS3_8ArrayRefIlEElLm2ENS6_16DefaultPtrTraitsElEENS_6detail16IndexBoundsCheckILm3ElEElLm3ESC_lEENS8_INS9_ISB_T_Lm2ESC_lEESG_SI_Lm3ESC_lEENS8_INS9_ISB_SI_Lm3ESC_lEENSF_ILm4ElEESI_Lm4ESC_lEEPKSI_l
                                        ; -- End function
	.section	.AMDGPU.csdata,"",@progbits
; Kernel info:
; codeLenInByte = 5312
; NumSgprs: 58
; NumVgprs: 26
; ScratchSize: 0
; MemoryBound: 0
; FloatMode: 240
; IeeeMode: 1
; LDSByteSize: 0 bytes/workgroup (compile time only)
; SGPRBlocks: 7
; VGPRBlocks: 3
; NumSGPRsForWavesPerEU: 58
; NumVGPRsForWavesPerEU: 26
; Occupancy: 16
; WaveLimiterHint : 1
; COMPUTE_PGM_RSRC2:SCRATCH_EN: 0
; COMPUTE_PGM_RSRC2:USER_SGPR: 15
; COMPUTE_PGM_RSRC2:TRAP_HANDLER: 0
; COMPUTE_PGM_RSRC2:TGID_X_EN: 1
; COMPUTE_PGM_RSRC2:TGID_Y_EN: 0
; COMPUTE_PGM_RSRC2:TGID_Z_EN: 0
; COMPUTE_PGM_RSRC2:TIDIG_COMP_CNT: 0
	.section	.text._ZN2at6native12_GLOBAL__N_126nll_loss2d_backward_kernelIdEEvPT_PKS3_PKlS6_S6_biiil,"axG",@progbits,_ZN2at6native12_GLOBAL__N_126nll_loss2d_backward_kernelIdEEvPT_PKS3_PKlS6_S6_biiil,comdat
	.globl	_ZN2at6native12_GLOBAL__N_126nll_loss2d_backward_kernelIdEEvPT_PKS3_PKlS6_S6_biiil ; -- Begin function _ZN2at6native12_GLOBAL__N_126nll_loss2d_backward_kernelIdEEvPT_PKS3_PKlS6_S6_biiil
	.p2align	8
	.type	_ZN2at6native12_GLOBAL__N_126nll_loss2d_backward_kernelIdEEvPT_PKS3_PKlS6_S6_biiil,@function
_ZN2at6native12_GLOBAL__N_126nll_loss2d_backward_kernelIdEEvPT_PKS3_PKlS6_S6_biiil: ; @_ZN2at6native12_GLOBAL__N_126nll_loss2d_backward_kernelIdEEvPT_PKS3_PKlS6_S6_biiil
; %bb.0:
	s_load_b256 s[4:11], s[0:1], 0x0
	s_waitcnt lgkmcnt(0)
	s_load_b64 s[2:3], s[6:7], 0x0
	s_clause 0x1
	s_load_b128 s[16:19], s[0:1], 0x28
	s_load_b64 s[6:7], s[0:1], 0x20
	s_waitcnt lgkmcnt(0)
	v_dual_mov_b32 v1, s2 :: v_dual_mov_b32 v2, s3
	s_bitcmp0_b32 s16, 0
	s_cbranch_scc1 .LBB20_2
; %bb.1:
	s_load_b64 s[6:7], s[6:7], 0x0
	s_waitcnt lgkmcnt(0)
	v_div_scale_f64 v[1:2], null, s[6:7], s[6:7], s[2:3]
	s_delay_alu instid0(VALU_DEP_1) | instskip(SKIP_2) | instid1(VALU_DEP_1)
	v_rcp_f64_e32 v[3:4], v[1:2]
	s_waitcnt_depctr 0xfff
	v_fma_f64 v[5:6], -v[1:2], v[3:4], 1.0
	v_fma_f64 v[3:4], v[3:4], v[5:6], v[3:4]
	s_delay_alu instid0(VALU_DEP_1) | instskip(NEXT) | instid1(VALU_DEP_1)
	v_fma_f64 v[5:6], -v[1:2], v[3:4], 1.0
	v_fma_f64 v[3:4], v[3:4], v[5:6], v[3:4]
	v_div_scale_f64 v[5:6], vcc_lo, s[2:3], s[6:7], s[2:3]
	s_delay_alu instid0(VALU_DEP_1) | instskip(NEXT) | instid1(VALU_DEP_1)
	v_mul_f64 v[7:8], v[5:6], v[3:4]
	v_fma_f64 v[1:2], -v[1:2], v[7:8], v[5:6]
	s_delay_alu instid0(VALU_DEP_1) | instskip(NEXT) | instid1(VALU_DEP_1)
	v_div_fmas_f64 v[1:2], v[1:2], v[3:4], v[7:8]
	v_div_fixup_f64 v[1:2], v[1:2], s[6:7], s[2:3]
.LBB20_2:
	v_cvt_f32_u32_e32 v3, s19
	s_sub_i32 s3, 0, s19
	s_load_b32 s6, s[0:1], 0x4c
	s_delay_alu instid0(VALU_DEP_1) | instskip(SKIP_2) | instid1(VALU_DEP_1)
	v_rcp_iflag_f32_e32 v3, v3
	s_waitcnt_depctr 0xfff
	v_mul_f32_e32 v3, 0x4f7ffffe, v3
	v_cvt_u32_f32_e32 v3, v3
	s_delay_alu instid0(VALU_DEP_1) | instskip(NEXT) | instid1(VALU_DEP_1)
	v_readfirstlane_b32 s2, v3
	s_mul_i32 s3, s3, s2
	s_delay_alu instid0(SALU_CYCLE_1) | instskip(NEXT) | instid1(SALU_CYCLE_1)
	s_mul_hi_u32 s3, s2, s3
	s_add_i32 s2, s2, s3
	s_delay_alu instid0(SALU_CYCLE_1) | instskip(NEXT) | instid1(SALU_CYCLE_1)
	s_mul_hi_u32 s2, s15, s2
	s_mul_i32 s3, s2, s19
	s_add_i32 s7, s2, 1
	s_sub_i32 s3, s15, s3
	s_delay_alu instid0(SALU_CYCLE_1)
	s_sub_i32 s12, s3, s19
	s_cmp_ge_u32 s3, s19
	s_cselect_b32 s2, s7, s2
	s_cselect_b32 s3, s12, s3
	s_add_i32 s7, s2, 1
	s_cmp_ge_u32 s3, s19
	s_cselect_b32 s2, s7, s2
	s_waitcnt lgkmcnt(0)
	s_and_b32 s6, s6, 0xffff
	s_mul_i32 s3, s2, s19
	s_delay_alu instid0(SALU_CYCLE_1) | instskip(NEXT) | instid1(SALU_CYCLE_1)
	s_sub_i32 s3, s15, s3
	v_mad_u64_u32 v[3:4], null, s3, s6, v[0:1]
	s_mov_b32 s3, exec_lo
	s_delay_alu instid0(VALU_DEP_1)
	v_cmpx_gt_i32_e64 s18, v3
	s_cbranch_execz .LBB20_21
; %bb.3:
	s_mul_i32 s20, s2, s18
	s_load_b64 s[2:3], s[0:1], 0x38
	s_mul_i32 s12, s20, s17
	v_ashrrev_i32_e32 v4, 31, v3
	s_ashr_i32 s13, s12, 31
	s_ashr_i32 s21, s20, 31
	s_lshl_b64 s[12:13], s[12:13], 3
	s_mul_i32 s6, s6, s19
	s_add_u32 s1, s4, s12
	s_addc_u32 s12, s5, s13
	s_ashr_i32 s5, s17, 31
	s_ashr_i32 s13, s18, 31
	s_cmp_lg_u64 s[10:11], 0
	v_lshlrev_b64 v[7:8], 3, v[3:4]
	s_cselect_b32 s14, -1, 0
	s_lshl_b64 s[20:21], s[20:21], 3
	v_xor_b32_e32 v6, 0x80000000, v2
	s_add_u32 s0, s8, s20
	s_addc_u32 s4, s9, s21
	v_add_co_u32 v7, vcc_lo, s0, v7
	v_mov_b32_e32 v5, v1
	v_add_co_ci_u32_e32 v8, vcc_lo, s4, v8, vcc_lo
	s_ashr_i32 s7, s6, 31
	s_mov_b32 s4, s17
	s_lshl_b64 s[8:9], s[6:7], 3
	s_mov_b32 s16, 0
                                        ; implicit-def: $sgpr17
                                        ; implicit-def: $sgpr15
                                        ; implicit-def: $sgpr19
                                        ; implicit-def: $sgpr20
	s_branch .LBB20_5
.LBB20_4:                               ;   in Loop: Header=BB20_5 Depth=1
	s_or_b32 exec_lo, exec_lo, s22
	s_delay_alu instid0(SALU_CYCLE_1) | instskip(NEXT) | instid1(SALU_CYCLE_1)
	s_and_b32 s0, exec_lo, s21
	s_or_b32 s16, s0, s16
	s_and_not1_b32 s0, s15, exec_lo
	s_and_b32 s15, s20, exec_lo
	s_and_not1_b32 s17, s17, exec_lo
	s_and_b32 s21, s19, exec_lo
	s_or_b32 s15, s0, s15
	s_or_b32 s17, s17, s21
	s_and_not1_b32 exec_lo, exec_lo, s16
	s_cbranch_execz .LBB20_15
.LBB20_5:                               ; =>This Inner Loop Header: Depth=1
	global_load_b64 v[9:10], v[7:8], off
	s_mov_b32 s21, -1
	s_mov_b32 s0, -1
	s_mov_b32 s22, exec_lo
                                        ; implicit-def: $sgpr24
                                        ; implicit-def: $sgpr25
	s_waitcnt vmcnt(0) lgkmcnt(0)
	v_cmpx_ne_u64_e64 s[2:3], v[9:10]
	s_cbranch_execz .LBB20_13
; %bb.6:                                ;   in Loop: Header=BB20_5 Depth=1
	v_cmp_lt_i64_e32 vcc_lo, -1, v[9:10]
	v_cmp_gt_i64_e64 s0, s[4:5], v[9:10]
	s_mov_b32 s24, -1
	s_mov_b32 s23, 0
	s_mov_b32 s26, 0
	s_delay_alu instid0(VALU_DEP_1) | instskip(NEXT) | instid1(SALU_CYCLE_1)
	s_and_b32 s25, vcc_lo, s0
	s_and_saveexec_b32 s0, s25
	s_cbranch_execz .LBB20_12
; %bb.7:                                ;   in Loop: Header=BB20_5 Depth=1
	v_mad_u64_u32 v[11:12], null, v9, s18, v[3:4]
	v_mul_lo_u32 v0, v9, s13
	v_mul_lo_u32 v13, v10, s18
	s_mov_b32 s25, 0
	s_mov_b32 s23, exec_lo
	s_delay_alu instid0(VALU_DEP_1) | instskip(NEXT) | instid1(VALU_DEP_1)
	v_add3_u32 v12, v13, v12, v0
	v_cmpx_lt_i64_e32 -1, v[11:12]
	s_cbranch_execz .LBB20_11
; %bb.8:                                ;   in Loop: Header=BB20_5 Depth=1
	v_dual_mov_b32 v14, v6 :: v_dual_mov_b32 v13, v5
	s_and_not1_b32 vcc_lo, exec_lo, s14
	s_cbranch_vccnz .LBB20_10
; %bb.9:                                ;   in Loop: Header=BB20_5 Depth=1
	v_lshlrev_b64 v[9:10], 3, v[9:10]
	s_delay_alu instid0(VALU_DEP_1) | instskip(NEXT) | instid1(VALU_DEP_2)
	v_add_co_u32 v9, vcc_lo, s10, v9
	v_add_co_ci_u32_e32 v10, vcc_lo, s11, v10, vcc_lo
	global_load_b64 v[9:10], v[9:10], off
	s_waitcnt vmcnt(0)
	v_mul_f64 v[13:14], v[9:10], -v[1:2]
.LBB20_10:                              ;   in Loop: Header=BB20_5 Depth=1
	v_lshlrev_b64 v[9:10], 3, v[11:12]
	s_mov_b32 s25, exec_lo
	s_delay_alu instid0(VALU_DEP_1) | instskip(NEXT) | instid1(VALU_DEP_2)
	v_add_co_u32 v9, vcc_lo, s1, v9
	v_add_co_ci_u32_e32 v10, vcc_lo, s12, v10, vcc_lo
	global_store_b64 v[9:10], v[13:14], off
.LBB20_11:                              ;   in Loop: Header=BB20_5 Depth=1
	s_or_b32 exec_lo, exec_lo, s23
	s_delay_alu instid0(SALU_CYCLE_1)
	s_mov_b32 s26, exec_lo
	s_xor_b32 s24, exec_lo, -1
	s_and_b32 s23, s25, exec_lo
.LBB20_12:                              ;   in Loop: Header=BB20_5 Depth=1
	s_or_b32 exec_lo, exec_lo, s0
	s_delay_alu instid0(SALU_CYCLE_1)
	s_and_b32 s25, s26, exec_lo
	s_and_b32 s24, s24, exec_lo
	s_or_not1_b32 s0, s23, exec_lo
.LBB20_13:                              ;   in Loop: Header=BB20_5 Depth=1
	s_or_b32 exec_lo, exec_lo, s22
	s_delay_alu instid0(SALU_CYCLE_1)
	s_and_not1_b32 s20, s20, exec_lo
	s_and_b32 s22, s25, exec_lo
	s_and_not1_b32 s19, s19, exec_lo
	s_and_b32 s23, s24, exec_lo
	s_or_b32 s20, s20, s22
	s_or_b32 s19, s19, s23
	s_and_saveexec_b32 s22, s0
	s_cbranch_execz .LBB20_4
; %bb.14:                               ;   in Loop: Header=BB20_5 Depth=1
	v_add_co_u32 v3, vcc_lo, v3, s6
	v_add_co_ci_u32_e32 v4, vcc_lo, s7, v4, vcc_lo
	v_add_co_u32 v7, s0, v7, s8
	s_delay_alu instid0(VALU_DEP_3)
	v_cmp_le_i32_e32 vcc_lo, s18, v3
	v_add_co_ci_u32_e64 v8, s0, s9, v8, s0
	s_and_not1_b32 s20, s20, exec_lo
	s_and_not1_b32 s19, s19, exec_lo
	s_or_not1_b32 s21, vcc_lo, exec_lo
	s_branch .LBB20_4
.LBB20_15:
	s_or_b32 exec_lo, exec_lo, s16
	s_xor_b32 s1, s17, -1
	s_mov_b32 s0, 0
	s_and_saveexec_b32 s2, s1
	s_delay_alu instid0(SALU_CYCLE_1)
	s_xor_b32 s1, exec_lo, s2
	s_cbranch_execz .LBB20_18
; %bb.16:
	s_and_saveexec_b32 s2, s15
	s_delay_alu instid0(SALU_CYCLE_1)
	s_xor_b32 s2, exec_lo, s2
	s_cbranch_execnz .LBB20_24
.LBB20_17:
	s_or_b32 exec_lo, exec_lo, s2
	s_delay_alu instid0(SALU_CYCLE_1)
	s_and_b32 s0, s0, exec_lo
.LBB20_18:
	s_and_not1_saveexec_b32 s1, s1
	s_cbranch_execnz .LBB20_22
; %bb.19:
	s_or_b32 exec_lo, exec_lo, s1
	s_delay_alu instid0(SALU_CYCLE_1)
	s_and_b32 exec_lo, exec_lo, s0
.LBB20_20:
	; divergent unreachable
.LBB20_21:
	s_nop 0
	s_sendmsg sendmsg(MSG_DEALLOC_VGPRS)
	s_endpgm
.LBB20_22:
	s_cbranch_execnz .LBB20_26
; %bb.23:
	s_or_b32 s0, s0, exec_lo
	s_or_b32 exec_lo, exec_lo, s1
	s_delay_alu instid0(SALU_CYCLE_1)
	s_and_b32 exec_lo, exec_lo, s0
	s_cbranch_execnz .LBB20_20
	s_branch .LBB20_21
.LBB20_24:
	s_cbranch_execnz .LBB20_28
; %bb.25:
	s_mov_b32 s0, exec_lo
	s_branch .LBB20_17
.LBB20_26:
	s_trap 2
	s_sendmsg_rtn_b32 s0, sendmsg(MSG_RTN_GET_DOORBELL)
	s_mov_b32 ttmp2, m0
	s_waitcnt lgkmcnt(0)
	s_and_b32 s0, s0, 0x3ff
	s_delay_alu instid0(SALU_CYCLE_1) | instskip(NEXT) | instid1(SALU_CYCLE_1)
	s_bitset1_b32 s0, 10
	s_mov_b32 m0, s0
	s_sendmsg sendmsg(MSG_INTERRUPT)
	s_mov_b32 m0, ttmp2
.LBB20_27:                              ; =>This Inner Loop Header: Depth=1
	s_sethalt 5
	s_branch .LBB20_27
.LBB20_28:
	s_trap 2
	s_sendmsg_rtn_b32 s0, sendmsg(MSG_RTN_GET_DOORBELL)
	s_mov_b32 ttmp2, m0
	s_waitcnt lgkmcnt(0)
	s_and_b32 s0, s0, 0x3ff
	s_delay_alu instid0(SALU_CYCLE_1) | instskip(NEXT) | instid1(SALU_CYCLE_1)
	s_bitset1_b32 s0, 10
	s_mov_b32 m0, s0
	s_sendmsg sendmsg(MSG_INTERRUPT)
	s_mov_b32 m0, ttmp2
.LBB20_29:                              ; =>This Inner Loop Header: Depth=1
	s_sethalt 5
	s_branch .LBB20_29
	.section	.rodata,"a",@progbits
	.p2align	6, 0x0
	.amdhsa_kernel _ZN2at6native12_GLOBAL__N_126nll_loss2d_backward_kernelIdEEvPT_PKS3_PKlS6_S6_biiil
		.amdhsa_group_segment_fixed_size 0
		.amdhsa_private_segment_fixed_size 0
		.amdhsa_kernarg_size 320
		.amdhsa_user_sgpr_count 15
		.amdhsa_user_sgpr_dispatch_ptr 0
		.amdhsa_user_sgpr_queue_ptr 0
		.amdhsa_user_sgpr_kernarg_segment_ptr 1
		.amdhsa_user_sgpr_dispatch_id 0
		.amdhsa_user_sgpr_private_segment_size 0
		.amdhsa_wavefront_size32 1
		.amdhsa_uses_dynamic_stack 0
		.amdhsa_enable_private_segment 0
		.amdhsa_system_sgpr_workgroup_id_x 1
		.amdhsa_system_sgpr_workgroup_id_y 0
		.amdhsa_system_sgpr_workgroup_id_z 0
		.amdhsa_system_sgpr_workgroup_info 0
		.amdhsa_system_vgpr_workitem_id 0
		.amdhsa_next_free_vgpr 15
		.amdhsa_next_free_sgpr 27
		.amdhsa_reserve_vcc 1
		.amdhsa_float_round_mode_32 0
		.amdhsa_float_round_mode_16_64 0
		.amdhsa_float_denorm_mode_32 3
		.amdhsa_float_denorm_mode_16_64 3
		.amdhsa_dx10_clamp 1
		.amdhsa_ieee_mode 1
		.amdhsa_fp16_overflow 0
		.amdhsa_workgroup_processor_mode 1
		.amdhsa_memory_ordered 1
		.amdhsa_forward_progress 0
		.amdhsa_shared_vgpr_count 0
		.amdhsa_exception_fp_ieee_invalid_op 0
		.amdhsa_exception_fp_denorm_src 0
		.amdhsa_exception_fp_ieee_div_zero 0
		.amdhsa_exception_fp_ieee_overflow 0
		.amdhsa_exception_fp_ieee_underflow 0
		.amdhsa_exception_fp_ieee_inexact 0
		.amdhsa_exception_int_div_zero 0
	.end_amdhsa_kernel
	.section	.text._ZN2at6native12_GLOBAL__N_126nll_loss2d_backward_kernelIdEEvPT_PKS3_PKlS6_S6_biiil,"axG",@progbits,_ZN2at6native12_GLOBAL__N_126nll_loss2d_backward_kernelIdEEvPT_PKS3_PKlS6_S6_biiil,comdat
.Lfunc_end20:
	.size	_ZN2at6native12_GLOBAL__N_126nll_loss2d_backward_kernelIdEEvPT_PKS3_PKlS6_S6_biiil, .Lfunc_end20-_ZN2at6native12_GLOBAL__N_126nll_loss2d_backward_kernelIdEEvPT_PKS3_PKlS6_S6_biiil
                                        ; -- End function
	.section	.AMDGPU.csdata,"",@progbits
; Kernel info:
; codeLenInByte = 1104
; NumSgprs: 29
; NumVgprs: 15
; ScratchSize: 0
; MemoryBound: 0
; FloatMode: 240
; IeeeMode: 1
; LDSByteSize: 0 bytes/workgroup (compile time only)
; SGPRBlocks: 3
; VGPRBlocks: 1
; NumSGPRsForWavesPerEU: 29
; NumVGPRsForWavesPerEU: 15
; Occupancy: 16
; WaveLimiterHint : 1
; COMPUTE_PGM_RSRC2:SCRATCH_EN: 0
; COMPUTE_PGM_RSRC2:USER_SGPR: 15
; COMPUTE_PGM_RSRC2:TRAP_HANDLER: 0
; COMPUTE_PGM_RSRC2:TGID_X_EN: 1
; COMPUTE_PGM_RSRC2:TGID_Y_EN: 0
; COMPUTE_PGM_RSRC2:TGID_Z_EN: 0
; COMPUTE_PGM_RSRC2:TIDIG_COMP_CNT: 0
	.section	.text._ZN2at6native12_GLOBAL__N_126nll_loss2d_backward_kernelIfEEvPT_PKS3_PKlS6_S6_biiil,"axG",@progbits,_ZN2at6native12_GLOBAL__N_126nll_loss2d_backward_kernelIfEEvPT_PKS3_PKlS6_S6_biiil,comdat
	.globl	_ZN2at6native12_GLOBAL__N_126nll_loss2d_backward_kernelIfEEvPT_PKS3_PKlS6_S6_biiil ; -- Begin function _ZN2at6native12_GLOBAL__N_126nll_loss2d_backward_kernelIfEEvPT_PKS3_PKlS6_S6_biiil
	.p2align	8
	.type	_ZN2at6native12_GLOBAL__N_126nll_loss2d_backward_kernelIfEEvPT_PKS3_PKlS6_S6_biiil,@function
_ZN2at6native12_GLOBAL__N_126nll_loss2d_backward_kernelIfEEvPT_PKS3_PKlS6_S6_biiil: ; @_ZN2at6native12_GLOBAL__N_126nll_loss2d_backward_kernelIfEEvPT_PKS3_PKlS6_S6_biiil
; %bb.0:
	s_load_b256 s[4:11], s[0:1], 0x0
	s_waitcnt lgkmcnt(0)
	s_load_b32 s6, s[6:7], 0x0
	s_clause 0x1
	s_load_b128 s[16:19], s[0:1], 0x28
	s_load_b64 s[2:3], s[0:1], 0x20
	s_waitcnt lgkmcnt(0)
	v_mov_b32_e32 v9, s6
	s_bitcmp0_b32 s16, 0
	s_cbranch_scc1 .LBB21_2
; %bb.1:
	s_load_b32 s2, s[2:3], 0x0
	s_waitcnt lgkmcnt(0)
	v_div_scale_f32 v1, null, s2, s2, s6
	s_delay_alu instid0(VALU_DEP_1) | instskip(SKIP_2) | instid1(VALU_DEP_1)
	v_rcp_f32_e32 v2, v1
	s_waitcnt_depctr 0xfff
	v_fma_f32 v3, -v1, v2, 1.0
	v_fmac_f32_e32 v2, v3, v2
	v_div_scale_f32 v3, vcc_lo, s6, s2, s6
	s_delay_alu instid0(VALU_DEP_1) | instskip(NEXT) | instid1(VALU_DEP_1)
	v_mul_f32_e32 v4, v3, v2
	v_fma_f32 v5, -v1, v4, v3
	s_delay_alu instid0(VALU_DEP_1) | instskip(NEXT) | instid1(VALU_DEP_1)
	v_fmac_f32_e32 v4, v5, v2
	v_fma_f32 v1, -v1, v4, v3
	s_delay_alu instid0(VALU_DEP_1) | instskip(NEXT) | instid1(VALU_DEP_1)
	v_div_fmas_f32 v1, v1, v2, v4
	v_div_fixup_f32 v9, v1, s2, s6
.LBB21_2:
	v_cvt_f32_u32_e32 v1, s19
	s_sub_i32 s3, 0, s19
	s_load_b32 s6, s[0:1], 0x4c
	s_delay_alu instid0(VALU_DEP_1) | instskip(SKIP_2) | instid1(VALU_DEP_1)
	v_rcp_iflag_f32_e32 v1, v1
	s_waitcnt_depctr 0xfff
	v_mul_f32_e32 v1, 0x4f7ffffe, v1
	v_cvt_u32_f32_e32 v1, v1
	s_delay_alu instid0(VALU_DEP_1) | instskip(NEXT) | instid1(VALU_DEP_1)
	v_readfirstlane_b32 s2, v1
	s_mul_i32 s3, s3, s2
	s_delay_alu instid0(SALU_CYCLE_1) | instskip(NEXT) | instid1(SALU_CYCLE_1)
	s_mul_hi_u32 s3, s2, s3
	s_add_i32 s2, s2, s3
	s_delay_alu instid0(SALU_CYCLE_1) | instskip(NEXT) | instid1(SALU_CYCLE_1)
	s_mul_hi_u32 s2, s15, s2
	s_mul_i32 s3, s2, s19
	s_add_i32 s7, s2, 1
	s_sub_i32 s3, s15, s3
	s_delay_alu instid0(SALU_CYCLE_1)
	s_sub_i32 s12, s3, s19
	s_cmp_ge_u32 s3, s19
	s_cselect_b32 s2, s7, s2
	s_cselect_b32 s3, s12, s3
	s_add_i32 s7, s2, 1
	s_cmp_ge_u32 s3, s19
	s_cselect_b32 s2, s7, s2
	s_waitcnt lgkmcnt(0)
	s_and_b32 s6, s6, 0xffff
	s_mul_i32 s3, s2, s19
	s_delay_alu instid0(SALU_CYCLE_1) | instskip(NEXT) | instid1(SALU_CYCLE_1)
	s_sub_i32 s3, s15, s3
	v_mad_u64_u32 v[1:2], null, s3, s6, v[0:1]
	s_mov_b32 s3, exec_lo
	s_delay_alu instid0(VALU_DEP_1)
	v_cmpx_gt_i32_e64 s18, v1
	s_cbranch_execz .LBB21_21
; %bb.3:
	s_mul_i32 s20, s2, s18
	s_load_b64 s[2:3], s[0:1], 0x38
	s_mul_i32 s12, s20, s17
	v_ashrrev_i32_e32 v2, 31, v1
	s_ashr_i32 s13, s12, 31
	s_ashr_i32 s21, s20, 31
	s_lshl_b64 s[12:13], s[12:13], 2
	s_mul_i32 s6, s6, s19
	s_add_u32 s1, s4, s12
	s_addc_u32 s12, s5, s13
	s_ashr_i32 s5, s17, 31
	s_ashr_i32 s13, s18, 31
	s_cmp_lg_u64 s[10:11], 0
	v_lshlrev_b64 v[3:4], 3, v[1:2]
	s_cselect_b32 s14, -1, 0
	s_lshl_b64 s[20:21], s[20:21], 3
	v_xor_b32_e32 v0, 0x80000000, v9
	s_add_u32 s0, s8, s20
	s_addc_u32 s4, s9, s21
	v_add_co_u32 v3, vcc_lo, s0, v3
	v_add_co_ci_u32_e32 v4, vcc_lo, s4, v4, vcc_lo
	s_ashr_i32 s7, s6, 31
	s_mov_b32 s4, s17
	s_lshl_b64 s[8:9], s[6:7], 3
	s_mov_b32 s16, 0
                                        ; implicit-def: $sgpr17
                                        ; implicit-def: $sgpr15
                                        ; implicit-def: $sgpr19
                                        ; implicit-def: $sgpr20
	s_branch .LBB21_5
.LBB21_4:                               ;   in Loop: Header=BB21_5 Depth=1
	s_or_b32 exec_lo, exec_lo, s22
	s_delay_alu instid0(SALU_CYCLE_1) | instskip(NEXT) | instid1(SALU_CYCLE_1)
	s_and_b32 s0, exec_lo, s21
	s_or_b32 s16, s0, s16
	s_and_not1_b32 s0, s15, exec_lo
	s_and_b32 s15, s20, exec_lo
	s_and_not1_b32 s17, s17, exec_lo
	s_and_b32 s21, s19, exec_lo
	s_or_b32 s15, s0, s15
	s_or_b32 s17, s17, s21
	s_and_not1_b32 exec_lo, exec_lo, s16
	s_cbranch_execz .LBB21_15
.LBB21_5:                               ; =>This Inner Loop Header: Depth=1
	global_load_b64 v[5:6], v[3:4], off
	s_mov_b32 s21, -1
	s_mov_b32 s0, -1
	s_mov_b32 s22, exec_lo
                                        ; implicit-def: $sgpr24
                                        ; implicit-def: $sgpr25
	s_waitcnt vmcnt(0) lgkmcnt(0)
	v_cmpx_ne_u64_e64 s[2:3], v[5:6]
	s_cbranch_execz .LBB21_13
; %bb.6:                                ;   in Loop: Header=BB21_5 Depth=1
	v_cmp_lt_i64_e32 vcc_lo, -1, v[5:6]
	v_cmp_gt_i64_e64 s0, s[4:5], v[5:6]
	s_mov_b32 s24, -1
	s_mov_b32 s23, 0
	s_mov_b32 s26, 0
	s_delay_alu instid0(VALU_DEP_1) | instskip(NEXT) | instid1(SALU_CYCLE_1)
	s_and_b32 s25, vcc_lo, s0
	s_and_saveexec_b32 s0, s25
	s_cbranch_execz .LBB21_12
; %bb.7:                                ;   in Loop: Header=BB21_5 Depth=1
	v_mad_u64_u32 v[7:8], null, v5, s18, v[1:2]
	v_mul_lo_u32 v10, v5, s13
	v_mul_lo_u32 v11, v6, s18
	s_mov_b32 s25, 0
	s_mov_b32 s23, exec_lo
	s_delay_alu instid0(VALU_DEP_1) | instskip(NEXT) | instid1(VALU_DEP_1)
	v_add3_u32 v8, v11, v8, v10
	v_cmpx_lt_i64_e32 -1, v[7:8]
	s_cbranch_execz .LBB21_11
; %bb.8:                                ;   in Loop: Header=BB21_5 Depth=1
	v_mov_b32_e32 v10, v0
	s_and_not1_b32 vcc_lo, exec_lo, s14
	s_cbranch_vccnz .LBB21_10
; %bb.9:                                ;   in Loop: Header=BB21_5 Depth=1
	v_lshlrev_b64 v[5:6], 2, v[5:6]
	s_delay_alu instid0(VALU_DEP_1) | instskip(NEXT) | instid1(VALU_DEP_2)
	v_add_co_u32 v5, vcc_lo, s10, v5
	v_add_co_ci_u32_e32 v6, vcc_lo, s11, v6, vcc_lo
	global_load_b32 v5, v[5:6], off
	s_waitcnt vmcnt(0)
	v_mul_f32_e64 v10, v5, -v9
.LBB21_10:                              ;   in Loop: Header=BB21_5 Depth=1
	v_lshlrev_b64 v[5:6], 2, v[7:8]
	s_mov_b32 s25, exec_lo
	s_delay_alu instid0(VALU_DEP_1) | instskip(NEXT) | instid1(VALU_DEP_2)
	v_add_co_u32 v5, vcc_lo, s1, v5
	v_add_co_ci_u32_e32 v6, vcc_lo, s12, v6, vcc_lo
	global_store_b32 v[5:6], v10, off
.LBB21_11:                              ;   in Loop: Header=BB21_5 Depth=1
	s_or_b32 exec_lo, exec_lo, s23
	s_delay_alu instid0(SALU_CYCLE_1)
	s_mov_b32 s26, exec_lo
	s_xor_b32 s24, exec_lo, -1
	s_and_b32 s23, s25, exec_lo
.LBB21_12:                              ;   in Loop: Header=BB21_5 Depth=1
	s_or_b32 exec_lo, exec_lo, s0
	s_delay_alu instid0(SALU_CYCLE_1)
	s_and_b32 s25, s26, exec_lo
	s_and_b32 s24, s24, exec_lo
	s_or_not1_b32 s0, s23, exec_lo
.LBB21_13:                              ;   in Loop: Header=BB21_5 Depth=1
	s_or_b32 exec_lo, exec_lo, s22
	s_delay_alu instid0(SALU_CYCLE_1)
	s_and_not1_b32 s20, s20, exec_lo
	s_and_b32 s22, s25, exec_lo
	s_and_not1_b32 s19, s19, exec_lo
	s_and_b32 s23, s24, exec_lo
	s_or_b32 s20, s20, s22
	s_or_b32 s19, s19, s23
	s_and_saveexec_b32 s22, s0
	s_cbranch_execz .LBB21_4
; %bb.14:                               ;   in Loop: Header=BB21_5 Depth=1
	v_add_co_u32 v1, vcc_lo, v1, s6
	v_add_co_ci_u32_e32 v2, vcc_lo, s7, v2, vcc_lo
	v_add_co_u32 v3, s0, v3, s8
	s_delay_alu instid0(VALU_DEP_3)
	v_cmp_le_i32_e32 vcc_lo, s18, v1
	v_add_co_ci_u32_e64 v4, s0, s9, v4, s0
	s_and_not1_b32 s20, s20, exec_lo
	s_and_not1_b32 s19, s19, exec_lo
	s_or_not1_b32 s21, vcc_lo, exec_lo
	s_branch .LBB21_4
.LBB21_15:
	s_or_b32 exec_lo, exec_lo, s16
	s_xor_b32 s1, s17, -1
	s_mov_b32 s0, 0
	s_and_saveexec_b32 s2, s1
	s_delay_alu instid0(SALU_CYCLE_1)
	s_xor_b32 s1, exec_lo, s2
	s_cbranch_execz .LBB21_18
; %bb.16:
	s_and_saveexec_b32 s2, s15
	s_delay_alu instid0(SALU_CYCLE_1)
	s_xor_b32 s2, exec_lo, s2
	s_cbranch_execnz .LBB21_24
.LBB21_17:
	s_or_b32 exec_lo, exec_lo, s2
	s_delay_alu instid0(SALU_CYCLE_1)
	s_and_b32 s0, s0, exec_lo
.LBB21_18:
	s_and_not1_saveexec_b32 s1, s1
	s_cbranch_execnz .LBB21_22
; %bb.19:
	s_or_b32 exec_lo, exec_lo, s1
	s_delay_alu instid0(SALU_CYCLE_1)
	s_and_b32 exec_lo, exec_lo, s0
.LBB21_20:
	; divergent unreachable
.LBB21_21:
	s_nop 0
	s_sendmsg sendmsg(MSG_DEALLOC_VGPRS)
	s_endpgm
.LBB21_22:
	s_cbranch_execnz .LBB21_26
; %bb.23:
	s_or_b32 s0, s0, exec_lo
	s_or_b32 exec_lo, exec_lo, s1
	s_delay_alu instid0(SALU_CYCLE_1)
	s_and_b32 exec_lo, exec_lo, s0
	s_cbranch_execnz .LBB21_20
	s_branch .LBB21_21
.LBB21_24:
	s_cbranch_execnz .LBB21_28
; %bb.25:
	s_mov_b32 s0, exec_lo
	s_branch .LBB21_17
.LBB21_26:
	s_trap 2
	s_sendmsg_rtn_b32 s0, sendmsg(MSG_RTN_GET_DOORBELL)
	s_mov_b32 ttmp2, m0
	s_waitcnt lgkmcnt(0)
	s_and_b32 s0, s0, 0x3ff
	s_delay_alu instid0(SALU_CYCLE_1) | instskip(NEXT) | instid1(SALU_CYCLE_1)
	s_bitset1_b32 s0, 10
	s_mov_b32 m0, s0
	s_sendmsg sendmsg(MSG_INTERRUPT)
	s_mov_b32 m0, ttmp2
.LBB21_27:                              ; =>This Inner Loop Header: Depth=1
	s_sethalt 5
	s_branch .LBB21_27
.LBB21_28:
	s_trap 2
	s_sendmsg_rtn_b32 s0, sendmsg(MSG_RTN_GET_DOORBELL)
	s_mov_b32 ttmp2, m0
	s_waitcnt lgkmcnt(0)
	s_and_b32 s0, s0, 0x3ff
	s_delay_alu instid0(SALU_CYCLE_1) | instskip(NEXT) | instid1(SALU_CYCLE_1)
	s_bitset1_b32 s0, 10
	s_mov_b32 m0, s0
	s_sendmsg sendmsg(MSG_INTERRUPT)
	s_mov_b32 m0, ttmp2
.LBB21_29:                              ; =>This Inner Loop Header: Depth=1
	s_sethalt 5
	s_branch .LBB21_29
	.section	.rodata,"a",@progbits
	.p2align	6, 0x0
	.amdhsa_kernel _ZN2at6native12_GLOBAL__N_126nll_loss2d_backward_kernelIfEEvPT_PKS3_PKlS6_S6_biiil
		.amdhsa_group_segment_fixed_size 0
		.amdhsa_private_segment_fixed_size 0
		.amdhsa_kernarg_size 320
		.amdhsa_user_sgpr_count 15
		.amdhsa_user_sgpr_dispatch_ptr 0
		.amdhsa_user_sgpr_queue_ptr 0
		.amdhsa_user_sgpr_kernarg_segment_ptr 1
		.amdhsa_user_sgpr_dispatch_id 0
		.amdhsa_user_sgpr_private_segment_size 0
		.amdhsa_wavefront_size32 1
		.amdhsa_uses_dynamic_stack 0
		.amdhsa_enable_private_segment 0
		.amdhsa_system_sgpr_workgroup_id_x 1
		.amdhsa_system_sgpr_workgroup_id_y 0
		.amdhsa_system_sgpr_workgroup_id_z 0
		.amdhsa_system_sgpr_workgroup_info 0
		.amdhsa_system_vgpr_workitem_id 0
		.amdhsa_next_free_vgpr 12
		.amdhsa_next_free_sgpr 27
		.amdhsa_reserve_vcc 1
		.amdhsa_float_round_mode_32 0
		.amdhsa_float_round_mode_16_64 0
		.amdhsa_float_denorm_mode_32 3
		.amdhsa_float_denorm_mode_16_64 3
		.amdhsa_dx10_clamp 1
		.amdhsa_ieee_mode 1
		.amdhsa_fp16_overflow 0
		.amdhsa_workgroup_processor_mode 1
		.amdhsa_memory_ordered 1
		.amdhsa_forward_progress 0
		.amdhsa_shared_vgpr_count 0
		.amdhsa_exception_fp_ieee_invalid_op 0
		.amdhsa_exception_fp_denorm_src 0
		.amdhsa_exception_fp_ieee_div_zero 0
		.amdhsa_exception_fp_ieee_overflow 0
		.amdhsa_exception_fp_ieee_underflow 0
		.amdhsa_exception_fp_ieee_inexact 0
		.amdhsa_exception_int_div_zero 0
	.end_amdhsa_kernel
	.section	.text._ZN2at6native12_GLOBAL__N_126nll_loss2d_backward_kernelIfEEvPT_PKS3_PKlS6_S6_biiil,"axG",@progbits,_ZN2at6native12_GLOBAL__N_126nll_loss2d_backward_kernelIfEEvPT_PKS3_PKlS6_S6_biiil,comdat
.Lfunc_end21:
	.size	_ZN2at6native12_GLOBAL__N_126nll_loss2d_backward_kernelIfEEvPT_PKS3_PKlS6_S6_biiil, .Lfunc_end21-_ZN2at6native12_GLOBAL__N_126nll_loss2d_backward_kernelIfEEvPT_PKS3_PKlS6_S6_biiil
                                        ; -- End function
	.section	.AMDGPU.csdata,"",@progbits
; Kernel info:
; codeLenInByte = 1080
; NumSgprs: 29
; NumVgprs: 12
; ScratchSize: 0
; MemoryBound: 0
; FloatMode: 240
; IeeeMode: 1
; LDSByteSize: 0 bytes/workgroup (compile time only)
; SGPRBlocks: 3
; VGPRBlocks: 1
; NumSGPRsForWavesPerEU: 29
; NumVGPRsForWavesPerEU: 12
; Occupancy: 16
; WaveLimiterHint : 1
; COMPUTE_PGM_RSRC2:SCRATCH_EN: 0
; COMPUTE_PGM_RSRC2:USER_SGPR: 15
; COMPUTE_PGM_RSRC2:TRAP_HANDLER: 0
; COMPUTE_PGM_RSRC2:TGID_X_EN: 1
; COMPUTE_PGM_RSRC2:TGID_Y_EN: 0
; COMPUTE_PGM_RSRC2:TGID_Z_EN: 0
; COMPUTE_PGM_RSRC2:TIDIG_COMP_CNT: 0
	.section	.text._ZN2at6native12_GLOBAL__N_126nll_loss2d_backward_kernelIN3c104HalfEEEvPT_PKS5_PKlS8_S8_biiil,"axG",@progbits,_ZN2at6native12_GLOBAL__N_126nll_loss2d_backward_kernelIN3c104HalfEEEvPT_PKS5_PKlS8_S8_biiil,comdat
	.globl	_ZN2at6native12_GLOBAL__N_126nll_loss2d_backward_kernelIN3c104HalfEEEvPT_PKS5_PKlS8_S8_biiil ; -- Begin function _ZN2at6native12_GLOBAL__N_126nll_loss2d_backward_kernelIN3c104HalfEEEvPT_PKS5_PKlS8_S8_biiil
	.p2align	8
	.type	_ZN2at6native12_GLOBAL__N_126nll_loss2d_backward_kernelIN3c104HalfEEEvPT_PKS5_PKlS8_S8_biiil,@function
_ZN2at6native12_GLOBAL__N_126nll_loss2d_backward_kernelIN3c104HalfEEEvPT_PKS5_PKlS8_S8_biiil: ; @_ZN2at6native12_GLOBAL__N_126nll_loss2d_backward_kernelIN3c104HalfEEEvPT_PKS5_PKlS8_S8_biiil
; %bb.0:
	s_load_b256 s[4:11], s[0:1], 0x0
	v_mov_b32_e32 v1, 0
	s_waitcnt lgkmcnt(0)
	global_load_u16 v9, v1, s[6:7]
	s_clause 0x1
	s_load_b128 s[16:19], s[0:1], 0x28
	s_load_b64 s[2:3], s[0:1], 0x20
	s_waitcnt lgkmcnt(0)
	s_bitcmp0_b32 s16, 0
	s_cbranch_scc1 .LBB22_2
; %bb.1:
	global_load_u16 v1, v1, s[2:3]
	s_waitcnt vmcnt(1)
	v_cvt_f32_f16_e32 v3, v9
	s_waitcnt vmcnt(0)
	v_cvt_f32_f16_e32 v2, v1
	s_delay_alu instid0(VALU_DEP_1) | instskip(SKIP_2) | instid1(VALU_DEP_1)
	v_rcp_f32_e32 v2, v2
	s_waitcnt_depctr 0xfff
	v_mul_f32_e32 v3, v3, v2
	v_fma_mix_f32 v4, -v1, v3, v9 op_sel_hi:[1,0,1]
	s_delay_alu instid0(VALU_DEP_1) | instskip(NEXT) | instid1(VALU_DEP_1)
	v_fmac_f32_e32 v3, v4, v2
	v_fma_mix_f32 v4, -v1, v3, v9 op_sel_hi:[1,0,1]
	s_delay_alu instid0(VALU_DEP_1) | instskip(NEXT) | instid1(VALU_DEP_1)
	v_mul_f32_e32 v2, v4, v2
	v_and_b32_e32 v2, 0xff800000, v2
	s_delay_alu instid0(VALU_DEP_1) | instskip(NEXT) | instid1(VALU_DEP_1)
	v_add_f32_e32 v2, v2, v3
	v_cvt_f16_f32_e32 v2, v2
	s_delay_alu instid0(VALU_DEP_1)
	v_div_fixup_f16 v9, v2, v1, v9
.LBB22_2:
	v_cvt_f32_u32_e32 v1, s19
	s_sub_i32 s3, 0, s19
	s_load_b32 s6, s[0:1], 0x4c
	s_delay_alu instid0(VALU_DEP_1) | instskip(SKIP_2) | instid1(VALU_DEP_1)
	v_rcp_iflag_f32_e32 v1, v1
	s_waitcnt_depctr 0xfff
	v_mul_f32_e32 v1, 0x4f7ffffe, v1
	v_cvt_u32_f32_e32 v1, v1
	s_delay_alu instid0(VALU_DEP_1) | instskip(NEXT) | instid1(VALU_DEP_1)
	v_readfirstlane_b32 s2, v1
	s_mul_i32 s3, s3, s2
	s_delay_alu instid0(SALU_CYCLE_1) | instskip(NEXT) | instid1(SALU_CYCLE_1)
	s_mul_hi_u32 s3, s2, s3
	s_add_i32 s2, s2, s3
	s_delay_alu instid0(SALU_CYCLE_1) | instskip(NEXT) | instid1(SALU_CYCLE_1)
	s_mul_hi_u32 s2, s15, s2
	s_mul_i32 s3, s2, s19
	s_add_i32 s7, s2, 1
	s_sub_i32 s3, s15, s3
	s_delay_alu instid0(SALU_CYCLE_1)
	s_sub_i32 s12, s3, s19
	s_cmp_ge_u32 s3, s19
	s_cselect_b32 s2, s7, s2
	s_cselect_b32 s3, s12, s3
	s_add_i32 s7, s2, 1
	s_cmp_ge_u32 s3, s19
	s_cselect_b32 s2, s7, s2
	s_waitcnt lgkmcnt(0)
	s_and_b32 s6, s6, 0xffff
	s_mul_i32 s3, s2, s19
	s_delay_alu instid0(SALU_CYCLE_1) | instskip(NEXT) | instid1(SALU_CYCLE_1)
	s_sub_i32 s3, s15, s3
	v_mad_u64_u32 v[1:2], null, s3, s6, v[0:1]
	s_mov_b32 s3, exec_lo
	s_delay_alu instid0(VALU_DEP_1)
	v_cmpx_gt_i32_e64 s18, v1
	s_cbranch_execz .LBB22_21
; %bb.3:
	s_mul_i32 s20, s2, s18
	s_load_b64 s[2:3], s[0:1], 0x38
	s_mul_i32 s12, s20, s17
	v_ashrrev_i32_e32 v2, 31, v1
	s_ashr_i32 s13, s12, 31
	s_ashr_i32 s21, s20, 31
	s_lshl_b64 s[12:13], s[12:13], 1
	s_mul_i32 s6, s6, s19
	s_add_u32 s1, s4, s12
	s_addc_u32 s12, s5, s13
	s_ashr_i32 s5, s17, 31
	s_ashr_i32 s13, s18, 31
	s_cmp_lg_u64 s[10:11], 0
	v_lshlrev_b64 v[3:4], 3, v[1:2]
	s_cselect_b32 s14, -1, 0
	s_lshl_b64 s[20:21], s[20:21], 3
	s_waitcnt vmcnt(0)
	v_xor_b32_e32 v0, 0x8000, v9
	s_add_u32 s0, s8, s20
	s_addc_u32 s4, s9, s21
	v_add_co_u32 v3, vcc_lo, s0, v3
	v_add_co_ci_u32_e32 v4, vcc_lo, s4, v4, vcc_lo
	s_ashr_i32 s7, s6, 31
	s_mov_b32 s4, s17
	s_lshl_b64 s[8:9], s[6:7], 3
	s_mov_b32 s16, 0
                                        ; implicit-def: $sgpr17
                                        ; implicit-def: $sgpr15
                                        ; implicit-def: $sgpr19
                                        ; implicit-def: $sgpr20
	s_branch .LBB22_5
.LBB22_4:                               ;   in Loop: Header=BB22_5 Depth=1
	s_or_b32 exec_lo, exec_lo, s22
	s_delay_alu instid0(SALU_CYCLE_1) | instskip(NEXT) | instid1(SALU_CYCLE_1)
	s_and_b32 s0, exec_lo, s21
	s_or_b32 s16, s0, s16
	s_and_not1_b32 s0, s15, exec_lo
	s_and_b32 s15, s20, exec_lo
	s_and_not1_b32 s17, s17, exec_lo
	s_and_b32 s21, s19, exec_lo
	s_or_b32 s15, s0, s15
	s_or_b32 s17, s17, s21
	s_and_not1_b32 exec_lo, exec_lo, s16
	s_cbranch_execz .LBB22_15
.LBB22_5:                               ; =>This Inner Loop Header: Depth=1
	global_load_b64 v[5:6], v[3:4], off
	s_mov_b32 s21, -1
	s_mov_b32 s0, -1
	s_mov_b32 s22, exec_lo
                                        ; implicit-def: $sgpr24
                                        ; implicit-def: $sgpr25
	s_waitcnt vmcnt(0) lgkmcnt(0)
	v_cmpx_ne_u64_e64 s[2:3], v[5:6]
	s_cbranch_execz .LBB22_13
; %bb.6:                                ;   in Loop: Header=BB22_5 Depth=1
	v_cmp_lt_i64_e32 vcc_lo, -1, v[5:6]
	v_cmp_gt_i64_e64 s0, s[4:5], v[5:6]
	s_mov_b32 s24, -1
	s_mov_b32 s23, 0
	s_mov_b32 s26, 0
	s_delay_alu instid0(VALU_DEP_1) | instskip(NEXT) | instid1(SALU_CYCLE_1)
	s_and_b32 s25, vcc_lo, s0
	s_and_saveexec_b32 s0, s25
	s_cbranch_execz .LBB22_12
; %bb.7:                                ;   in Loop: Header=BB22_5 Depth=1
	v_mad_u64_u32 v[7:8], null, v5, s18, v[1:2]
	v_mul_lo_u32 v10, v5, s13
	v_mul_lo_u32 v11, v6, s18
	s_mov_b32 s25, 0
	s_mov_b32 s23, exec_lo
	s_delay_alu instid0(VALU_DEP_1) | instskip(NEXT) | instid1(VALU_DEP_1)
	v_add3_u32 v8, v11, v8, v10
	v_cmpx_lt_i64_e32 -1, v[7:8]
	s_cbranch_execz .LBB22_11
; %bb.8:                                ;   in Loop: Header=BB22_5 Depth=1
	v_mov_b32_e32 v10, v0
	s_and_not1_b32 vcc_lo, exec_lo, s14
	s_cbranch_vccnz .LBB22_10
; %bb.9:                                ;   in Loop: Header=BB22_5 Depth=1
	v_lshlrev_b64 v[5:6], 1, v[5:6]
	s_delay_alu instid0(VALU_DEP_1) | instskip(NEXT) | instid1(VALU_DEP_2)
	v_add_co_u32 v5, vcc_lo, s10, v5
	v_add_co_ci_u32_e32 v6, vcc_lo, s11, v6, vcc_lo
	global_load_u16 v5, v[5:6], off
	s_waitcnt vmcnt(0)
	v_mul_f16_e64 v10, v5, -v9
.LBB22_10:                              ;   in Loop: Header=BB22_5 Depth=1
	v_lshlrev_b64 v[5:6], 1, v[7:8]
	s_mov_b32 s25, exec_lo
	s_delay_alu instid0(VALU_DEP_1) | instskip(NEXT) | instid1(VALU_DEP_2)
	v_add_co_u32 v5, vcc_lo, s1, v5
	v_add_co_ci_u32_e32 v6, vcc_lo, s12, v6, vcc_lo
	global_store_b16 v[5:6], v10, off
.LBB22_11:                              ;   in Loop: Header=BB22_5 Depth=1
	s_or_b32 exec_lo, exec_lo, s23
	s_delay_alu instid0(SALU_CYCLE_1)
	s_mov_b32 s26, exec_lo
	s_xor_b32 s24, exec_lo, -1
	s_and_b32 s23, s25, exec_lo
.LBB22_12:                              ;   in Loop: Header=BB22_5 Depth=1
	s_or_b32 exec_lo, exec_lo, s0
	s_delay_alu instid0(SALU_CYCLE_1)
	s_and_b32 s25, s26, exec_lo
	s_and_b32 s24, s24, exec_lo
	s_or_not1_b32 s0, s23, exec_lo
.LBB22_13:                              ;   in Loop: Header=BB22_5 Depth=1
	s_or_b32 exec_lo, exec_lo, s22
	s_delay_alu instid0(SALU_CYCLE_1)
	s_and_not1_b32 s20, s20, exec_lo
	s_and_b32 s22, s25, exec_lo
	s_and_not1_b32 s19, s19, exec_lo
	s_and_b32 s23, s24, exec_lo
	s_or_b32 s20, s20, s22
	s_or_b32 s19, s19, s23
	s_and_saveexec_b32 s22, s0
	s_cbranch_execz .LBB22_4
; %bb.14:                               ;   in Loop: Header=BB22_5 Depth=1
	v_add_co_u32 v1, vcc_lo, v1, s6
	v_add_co_ci_u32_e32 v2, vcc_lo, s7, v2, vcc_lo
	v_add_co_u32 v3, s0, v3, s8
	s_delay_alu instid0(VALU_DEP_3)
	v_cmp_le_i32_e32 vcc_lo, s18, v1
	v_add_co_ci_u32_e64 v4, s0, s9, v4, s0
	s_and_not1_b32 s20, s20, exec_lo
	s_and_not1_b32 s19, s19, exec_lo
	s_or_not1_b32 s21, vcc_lo, exec_lo
	s_branch .LBB22_4
.LBB22_15:
	s_or_b32 exec_lo, exec_lo, s16
	s_xor_b32 s1, s17, -1
	s_mov_b32 s0, 0
	s_and_saveexec_b32 s2, s1
	s_delay_alu instid0(SALU_CYCLE_1)
	s_xor_b32 s1, exec_lo, s2
	s_cbranch_execz .LBB22_18
; %bb.16:
	s_and_saveexec_b32 s2, s15
	s_delay_alu instid0(SALU_CYCLE_1)
	s_xor_b32 s2, exec_lo, s2
	s_cbranch_execnz .LBB22_24
.LBB22_17:
	s_or_b32 exec_lo, exec_lo, s2
	s_delay_alu instid0(SALU_CYCLE_1)
	s_and_b32 s0, s0, exec_lo
.LBB22_18:
	s_and_not1_saveexec_b32 s1, s1
	s_cbranch_execnz .LBB22_22
; %bb.19:
	s_or_b32 exec_lo, exec_lo, s1
	s_delay_alu instid0(SALU_CYCLE_1)
	s_and_b32 exec_lo, exec_lo, s0
.LBB22_20:
	; divergent unreachable
.LBB22_21:
	s_nop 0
	s_sendmsg sendmsg(MSG_DEALLOC_VGPRS)
	s_endpgm
.LBB22_22:
	s_cbranch_execnz .LBB22_26
; %bb.23:
	s_or_b32 s0, s0, exec_lo
	s_or_b32 exec_lo, exec_lo, s1
	s_delay_alu instid0(SALU_CYCLE_1)
	s_and_b32 exec_lo, exec_lo, s0
	s_cbranch_execnz .LBB22_20
	s_branch .LBB22_21
.LBB22_24:
	s_cbranch_execnz .LBB22_28
; %bb.25:
	s_mov_b32 s0, exec_lo
	s_branch .LBB22_17
.LBB22_26:
	s_trap 2
	s_sendmsg_rtn_b32 s0, sendmsg(MSG_RTN_GET_DOORBELL)
	s_mov_b32 ttmp2, m0
	s_waitcnt lgkmcnt(0)
	s_and_b32 s0, s0, 0x3ff
	s_delay_alu instid0(SALU_CYCLE_1) | instskip(NEXT) | instid1(SALU_CYCLE_1)
	s_bitset1_b32 s0, 10
	s_mov_b32 m0, s0
	s_sendmsg sendmsg(MSG_INTERRUPT)
	s_mov_b32 m0, ttmp2
.LBB22_27:                              ; =>This Inner Loop Header: Depth=1
	s_sethalt 5
	s_branch .LBB22_27
.LBB22_28:
	s_trap 2
	s_sendmsg_rtn_b32 s0, sendmsg(MSG_RTN_GET_DOORBELL)
	s_mov_b32 ttmp2, m0
	s_waitcnt lgkmcnt(0)
	s_and_b32 s0, s0, 0x3ff
	s_delay_alu instid0(SALU_CYCLE_1) | instskip(NEXT) | instid1(SALU_CYCLE_1)
	s_bitset1_b32 s0, 10
	s_mov_b32 m0, s0
	s_sendmsg sendmsg(MSG_INTERRUPT)
	s_mov_b32 m0, ttmp2
.LBB22_29:                              ; =>This Inner Loop Header: Depth=1
	s_sethalt 5
	s_branch .LBB22_29
	.section	.rodata,"a",@progbits
	.p2align	6, 0x0
	.amdhsa_kernel _ZN2at6native12_GLOBAL__N_126nll_loss2d_backward_kernelIN3c104HalfEEEvPT_PKS5_PKlS8_S8_biiil
		.amdhsa_group_segment_fixed_size 0
		.amdhsa_private_segment_fixed_size 0
		.amdhsa_kernarg_size 320
		.amdhsa_user_sgpr_count 15
		.amdhsa_user_sgpr_dispatch_ptr 0
		.amdhsa_user_sgpr_queue_ptr 0
		.amdhsa_user_sgpr_kernarg_segment_ptr 1
		.amdhsa_user_sgpr_dispatch_id 0
		.amdhsa_user_sgpr_private_segment_size 0
		.amdhsa_wavefront_size32 1
		.amdhsa_uses_dynamic_stack 0
		.amdhsa_enable_private_segment 0
		.amdhsa_system_sgpr_workgroup_id_x 1
		.amdhsa_system_sgpr_workgroup_id_y 0
		.amdhsa_system_sgpr_workgroup_id_z 0
		.amdhsa_system_sgpr_workgroup_info 0
		.amdhsa_system_vgpr_workitem_id 0
		.amdhsa_next_free_vgpr 12
		.amdhsa_next_free_sgpr 27
		.amdhsa_reserve_vcc 1
		.amdhsa_float_round_mode_32 0
		.amdhsa_float_round_mode_16_64 0
		.amdhsa_float_denorm_mode_32 3
		.amdhsa_float_denorm_mode_16_64 3
		.amdhsa_dx10_clamp 1
		.amdhsa_ieee_mode 1
		.amdhsa_fp16_overflow 0
		.amdhsa_workgroup_processor_mode 1
		.amdhsa_memory_ordered 1
		.amdhsa_forward_progress 0
		.amdhsa_shared_vgpr_count 0
		.amdhsa_exception_fp_ieee_invalid_op 0
		.amdhsa_exception_fp_denorm_src 0
		.amdhsa_exception_fp_ieee_div_zero 0
		.amdhsa_exception_fp_ieee_overflow 0
		.amdhsa_exception_fp_ieee_underflow 0
		.amdhsa_exception_fp_ieee_inexact 0
		.amdhsa_exception_int_div_zero 0
	.end_amdhsa_kernel
	.section	.text._ZN2at6native12_GLOBAL__N_126nll_loss2d_backward_kernelIN3c104HalfEEEvPT_PKS5_PKlS8_S8_biiil,"axG",@progbits,_ZN2at6native12_GLOBAL__N_126nll_loss2d_backward_kernelIN3c104HalfEEEvPT_PKS5_PKlS8_S8_biiil,comdat
.Lfunc_end22:
	.size	_ZN2at6native12_GLOBAL__N_126nll_loss2d_backward_kernelIN3c104HalfEEEvPT_PKS5_PKlS8_S8_biiil, .Lfunc_end22-_ZN2at6native12_GLOBAL__N_126nll_loss2d_backward_kernelIN3c104HalfEEEvPT_PKS5_PKlS8_S8_biiil
                                        ; -- End function
	.section	.AMDGPU.csdata,"",@progbits
; Kernel info:
; codeLenInByte = 1084
; NumSgprs: 29
; NumVgprs: 12
; ScratchSize: 0
; MemoryBound: 0
; FloatMode: 240
; IeeeMode: 1
; LDSByteSize: 0 bytes/workgroup (compile time only)
; SGPRBlocks: 3
; VGPRBlocks: 1
; NumSGPRsForWavesPerEU: 29
; NumVGPRsForWavesPerEU: 12
; Occupancy: 16
; WaveLimiterHint : 1
; COMPUTE_PGM_RSRC2:SCRATCH_EN: 0
; COMPUTE_PGM_RSRC2:USER_SGPR: 15
; COMPUTE_PGM_RSRC2:TRAP_HANDLER: 0
; COMPUTE_PGM_RSRC2:TGID_X_EN: 1
; COMPUTE_PGM_RSRC2:TGID_Y_EN: 0
; COMPUTE_PGM_RSRC2:TGID_Z_EN: 0
; COMPUTE_PGM_RSRC2:TIDIG_COMP_CNT: 0
	.section	.text._ZN2at6native12_GLOBAL__N_126nll_loss2d_backward_kernelIN3c108BFloat16EEEvPT_PKS5_PKlS8_S8_biiil,"axG",@progbits,_ZN2at6native12_GLOBAL__N_126nll_loss2d_backward_kernelIN3c108BFloat16EEEvPT_PKS5_PKlS8_S8_biiil,comdat
	.globl	_ZN2at6native12_GLOBAL__N_126nll_loss2d_backward_kernelIN3c108BFloat16EEEvPT_PKS5_PKlS8_S8_biiil ; -- Begin function _ZN2at6native12_GLOBAL__N_126nll_loss2d_backward_kernelIN3c108BFloat16EEEvPT_PKS5_PKlS8_S8_biiil
	.p2align	8
	.type	_ZN2at6native12_GLOBAL__N_126nll_loss2d_backward_kernelIN3c108BFloat16EEEvPT_PKS5_PKlS8_S8_biiil,@function
_ZN2at6native12_GLOBAL__N_126nll_loss2d_backward_kernelIN3c108BFloat16EEEvPT_PKS5_PKlS8_S8_biiil: ; @_ZN2at6native12_GLOBAL__N_126nll_loss2d_backward_kernelIN3c108BFloat16EEEvPT_PKS5_PKlS8_S8_biiil
; %bb.0:
	s_load_b256 s[4:11], s[0:1], 0x0
	v_mov_b32_e32 v1, 0
	s_waitcnt lgkmcnt(0)
	global_load_u16 v2, v1, s[6:7]
	s_clause 0x1
	s_load_b128 s[16:19], s[0:1], 0x28
	s_load_b64 s[2:3], s[0:1], 0x20
	s_waitcnt lgkmcnt(0)
	s_bitcmp0_b32 s16, 0
	s_waitcnt vmcnt(0)
	v_readfirstlane_b32 s6, v2
	s_cbranch_scc1 .LBB23_2
; %bb.1:
	global_load_u16 v1, v1, s[2:3]
	s_lshl_b32 s2, s6, 16
	s_waitcnt vmcnt(0)
	v_lshlrev_b32_e32 v1, 16, v1
	s_delay_alu instid0(VALU_DEP_1) | instskip(SKIP_1) | instid1(VALU_DEP_2)
	v_div_scale_f32 v2, null, v1, v1, s2
	v_div_scale_f32 v5, vcc_lo, s2, v1, s2
	v_rcp_f32_e32 v3, v2
	s_waitcnt_depctr 0xfff
	v_fma_f32 v4, -v2, v3, 1.0
	s_delay_alu instid0(VALU_DEP_1) | instskip(NEXT) | instid1(VALU_DEP_1)
	v_fmac_f32_e32 v3, v4, v3
	v_mul_f32_e32 v4, v5, v3
	s_delay_alu instid0(VALU_DEP_1) | instskip(NEXT) | instid1(VALU_DEP_1)
	v_fma_f32 v6, -v2, v4, v5
	v_fmac_f32_e32 v4, v6, v3
	s_delay_alu instid0(VALU_DEP_1) | instskip(NEXT) | instid1(VALU_DEP_1)
	v_fma_f32 v2, -v2, v4, v5
	v_div_fmas_f32 v2, v2, v3, v4
	s_delay_alu instid0(VALU_DEP_1) | instskip(NEXT) | instid1(VALU_DEP_1)
	v_div_fixup_f32 v1, v2, v1, s2
	v_readfirstlane_b32 s2, v1
	v_cmp_o_f32_e32 vcc_lo, v1, v1
	s_delay_alu instid0(VALU_DEP_2) | instskip(NEXT) | instid1(SALU_CYCLE_1)
	s_bfe_u32 s3, s2, 0x10010
	s_add_i32 s2, s2, s3
	s_delay_alu instid0(SALU_CYCLE_1) | instskip(NEXT) | instid1(SALU_CYCLE_1)
	s_addk_i32 s2, 0x7fff
	s_lshr_b32 s2, s2, 16
	s_and_b32 s3, vcc_lo, exec_lo
	s_cselect_b32 s6, s2, 0x7fc0
.LBB23_2:
	v_cvt_f32_u32_e32 v1, s19
	s_sub_i32 s3, 0, s19
	s_load_b32 s7, s[0:1], 0x4c
	s_delay_alu instid0(VALU_DEP_1) | instskip(SKIP_2) | instid1(VALU_DEP_1)
	v_rcp_iflag_f32_e32 v1, v1
	s_waitcnt_depctr 0xfff
	v_mul_f32_e32 v1, 0x4f7ffffe, v1
	v_cvt_u32_f32_e32 v1, v1
	s_delay_alu instid0(VALU_DEP_1) | instskip(NEXT) | instid1(VALU_DEP_1)
	v_readfirstlane_b32 s2, v1
	s_mul_i32 s3, s3, s2
	s_delay_alu instid0(SALU_CYCLE_1) | instskip(NEXT) | instid1(SALU_CYCLE_1)
	s_mul_hi_u32 s3, s2, s3
	s_add_i32 s2, s2, s3
	s_delay_alu instid0(SALU_CYCLE_1) | instskip(NEXT) | instid1(SALU_CYCLE_1)
	s_mul_hi_u32 s2, s15, s2
	s_mul_i32 s3, s2, s19
	s_add_i32 s12, s2, 1
	s_sub_i32 s3, s15, s3
	s_delay_alu instid0(SALU_CYCLE_1)
	s_sub_i32 s13, s3, s19
	s_cmp_ge_u32 s3, s19
	s_cselect_b32 s2, s12, s2
	s_cselect_b32 s3, s13, s3
	s_add_i32 s12, s2, 1
	s_cmp_ge_u32 s3, s19
	s_cselect_b32 s2, s12, s2
	s_waitcnt lgkmcnt(0)
	s_and_b32 s7, s7, 0xffff
	s_mul_i32 s3, s2, s19
	s_delay_alu instid0(SALU_CYCLE_1) | instskip(NEXT) | instid1(SALU_CYCLE_1)
	s_sub_i32 s3, s15, s3
	v_mad_u64_u32 v[1:2], null, s3, s7, v[0:1]
	s_mov_b32 s3, exec_lo
	s_delay_alu instid0(VALU_DEP_1)
	v_cmpx_gt_i32_e64 s18, v1
	s_cbranch_execz .LBB23_21
; %bb.3:
	s_lshl_b32 s3, s6, 16
	s_mul_i32 s20, s2, s18
	s_xor_b32 s6, s3, 0x80000000
	v_cmp_o_f32_e64 s3, s3, s3
	s_bfe_u32 s12, s6, 0x10010
	s_mul_i32 s14, s20, s17
	s_add_i32 s6, s6, s12
	v_ashrrev_i32_e32 v2, 31, v1
	s_addk_i32 s6, 0x7fff
                                        ; implicit-def: $sgpr22
	s_delay_alu instid0(SALU_CYCLE_1)
	s_lshr_b32 s2, s6, 16
	s_and_b32 s3, s3, exec_lo
	s_cselect_b32 s12, s2, 0x7fc0
	s_load_b64 s[2:3], s[0:1], 0x38
	s_ashr_i32 s15, s14, 31
	s_ashr_i32 s21, s20, 31
	s_lshl_b64 s[14:15], s[14:15], 1
	v_lshlrev_b64 v[3:4], 3, v[1:2]
	s_add_u32 s1, s4, s14
	s_addc_u32 s13, s5, s15
	s_ashr_i32 s5, s17, 31
	s_ashr_i32 s14, s18, 31
	s_cmp_lg_u64 s[10:11], 0
	s_mul_i32 s6, s7, s19
	s_cselect_b32 s15, -1, 0
	s_lshl_b64 s[20:21], s[20:21], 3
	s_lshl_b32 s16, s12, 16
	s_add_u32 s0, s8, s20
	s_addc_u32 s4, s9, s21
	v_add_co_u32 v3, vcc_lo, s0, v3
	v_add_co_ci_u32_e32 v4, vcc_lo, s4, v4, vcc_lo
	s_ashr_i32 s7, s6, 31
	s_mov_b32 s4, s17
	s_lshl_b64 s[8:9], s[6:7], 3
	s_mov_b32 s19, 0
                                        ; implicit-def: $sgpr20
                                        ; implicit-def: $sgpr17
                                        ; implicit-def: $sgpr21
	s_branch .LBB23_5
.LBB23_4:                               ;   in Loop: Header=BB23_5 Depth=1
	s_or_b32 exec_lo, exec_lo, s24
	s_delay_alu instid0(SALU_CYCLE_1) | instskip(NEXT) | instid1(SALU_CYCLE_1)
	s_and_b32 s0, exec_lo, s23
	s_or_b32 s19, s0, s19
	s_and_not1_b32 s0, s17, exec_lo
	s_and_b32 s17, s22, exec_lo
	s_and_not1_b32 s20, s20, exec_lo
	s_and_b32 s23, s21, exec_lo
	s_or_b32 s17, s0, s17
	s_or_b32 s20, s20, s23
	s_and_not1_b32 exec_lo, exec_lo, s19
	s_cbranch_execz .LBB23_15
.LBB23_5:                               ; =>This Inner Loop Header: Depth=1
	global_load_b64 v[5:6], v[3:4], off
	s_mov_b32 s23, -1
	s_mov_b32 s0, -1
	s_mov_b32 s24, exec_lo
                                        ; implicit-def: $sgpr26
                                        ; implicit-def: $sgpr27
	s_waitcnt vmcnt(0) lgkmcnt(0)
	v_cmpx_ne_u64_e64 s[2:3], v[5:6]
	s_cbranch_execz .LBB23_13
; %bb.6:                                ;   in Loop: Header=BB23_5 Depth=1
	v_cmp_lt_i64_e32 vcc_lo, -1, v[5:6]
	v_cmp_gt_i64_e64 s0, s[4:5], v[5:6]
	s_mov_b32 s26, -1
	s_mov_b32 s25, 0
	s_mov_b32 s28, 0
	s_delay_alu instid0(VALU_DEP_1) | instskip(NEXT) | instid1(SALU_CYCLE_1)
	s_and_b32 s27, vcc_lo, s0
	s_and_saveexec_b32 s0, s27
	s_cbranch_execz .LBB23_12
; %bb.7:                                ;   in Loop: Header=BB23_5 Depth=1
	v_mad_u64_u32 v[7:8], null, v5, s18, v[1:2]
	v_mul_lo_u32 v0, v5, s14
	v_mul_lo_u32 v9, v6, s18
	s_mov_b32 s27, 0
	s_mov_b32 s25, exec_lo
	s_delay_alu instid0(VALU_DEP_1) | instskip(NEXT) | instid1(VALU_DEP_1)
	v_add3_u32 v8, v9, v8, v0
	v_cmpx_lt_i64_e32 -1, v[7:8]
	s_cbranch_execz .LBB23_11
; %bb.8:                                ;   in Loop: Header=BB23_5 Depth=1
	v_mov_b32_e32 v0, s12
	s_and_not1_b32 vcc_lo, exec_lo, s15
	s_cbranch_vccnz .LBB23_10
; %bb.9:                                ;   in Loop: Header=BB23_5 Depth=1
	v_lshlrev_b64 v[5:6], 1, v[5:6]
	s_delay_alu instid0(VALU_DEP_1) | instskip(NEXT) | instid1(VALU_DEP_2)
	v_add_co_u32 v5, vcc_lo, s10, v5
	v_add_co_ci_u32_e32 v6, vcc_lo, s11, v6, vcc_lo
	global_load_u16 v0, v[5:6], off
	s_waitcnt vmcnt(0)
	v_lshlrev_b32_e32 v0, 16, v0
	s_delay_alu instid0(VALU_DEP_1) | instskip(NEXT) | instid1(VALU_DEP_1)
	v_mul_f32_e32 v0, s16, v0
	v_bfe_u32 v5, v0, 16, 1
	v_cmp_o_f32_e32 vcc_lo, v0, v0
	s_delay_alu instid0(VALU_DEP_2) | instskip(NEXT) | instid1(VALU_DEP_1)
	v_add3_u32 v5, v0, v5, 0x7fff
	v_lshrrev_b32_e32 v5, 16, v5
	s_delay_alu instid0(VALU_DEP_1)
	v_cndmask_b32_e32 v0, 0x7fc0, v5, vcc_lo
.LBB23_10:                              ;   in Loop: Header=BB23_5 Depth=1
	v_lshlrev_b64 v[5:6], 1, v[7:8]
	s_mov_b32 s27, exec_lo
	s_delay_alu instid0(VALU_DEP_1) | instskip(NEXT) | instid1(VALU_DEP_2)
	v_add_co_u32 v5, vcc_lo, s1, v5
	v_add_co_ci_u32_e32 v6, vcc_lo, s13, v6, vcc_lo
	global_store_b16 v[5:6], v0, off
.LBB23_11:                              ;   in Loop: Header=BB23_5 Depth=1
	s_or_b32 exec_lo, exec_lo, s25
	s_delay_alu instid0(SALU_CYCLE_1)
	s_mov_b32 s28, exec_lo
	s_xor_b32 s26, exec_lo, -1
	s_and_b32 s25, s27, exec_lo
.LBB23_12:                              ;   in Loop: Header=BB23_5 Depth=1
	s_or_b32 exec_lo, exec_lo, s0
	s_delay_alu instid0(SALU_CYCLE_1)
	s_and_b32 s27, s28, exec_lo
	s_and_b32 s26, s26, exec_lo
	s_or_not1_b32 s0, s25, exec_lo
.LBB23_13:                              ;   in Loop: Header=BB23_5 Depth=1
	s_or_b32 exec_lo, exec_lo, s24
	s_delay_alu instid0(SALU_CYCLE_1)
	s_and_not1_b32 s22, s22, exec_lo
	s_and_b32 s24, s27, exec_lo
	s_and_not1_b32 s21, s21, exec_lo
	s_and_b32 s25, s26, exec_lo
	s_or_b32 s22, s22, s24
	s_or_b32 s21, s21, s25
	s_and_saveexec_b32 s24, s0
	s_cbranch_execz .LBB23_4
; %bb.14:                               ;   in Loop: Header=BB23_5 Depth=1
	v_add_co_u32 v1, vcc_lo, v1, s6
	v_add_co_ci_u32_e32 v2, vcc_lo, s7, v2, vcc_lo
	v_add_co_u32 v3, s0, v3, s8
	s_delay_alu instid0(VALU_DEP_3)
	v_cmp_le_i32_e32 vcc_lo, s18, v1
	v_add_co_ci_u32_e64 v4, s0, s9, v4, s0
	s_and_not1_b32 s22, s22, exec_lo
	s_and_not1_b32 s21, s21, exec_lo
	s_or_not1_b32 s23, vcc_lo, exec_lo
	s_branch .LBB23_4
.LBB23_15:
	s_or_b32 exec_lo, exec_lo, s19
	s_xor_b32 s1, s20, -1
	s_mov_b32 s0, 0
	s_and_saveexec_b32 s2, s1
	s_delay_alu instid0(SALU_CYCLE_1)
	s_xor_b32 s1, exec_lo, s2
	s_cbranch_execz .LBB23_18
; %bb.16:
	s_and_saveexec_b32 s2, s17
	s_delay_alu instid0(SALU_CYCLE_1)
	s_xor_b32 s2, exec_lo, s2
	s_cbranch_execnz .LBB23_24
.LBB23_17:
	s_or_b32 exec_lo, exec_lo, s2
	s_delay_alu instid0(SALU_CYCLE_1)
	s_and_b32 s0, s0, exec_lo
.LBB23_18:
	s_and_not1_saveexec_b32 s1, s1
	s_cbranch_execnz .LBB23_22
; %bb.19:
	s_or_b32 exec_lo, exec_lo, s1
	s_delay_alu instid0(SALU_CYCLE_1)
	s_and_b32 exec_lo, exec_lo, s0
.LBB23_20:
	; divergent unreachable
.LBB23_21:
	s_nop 0
	s_sendmsg sendmsg(MSG_DEALLOC_VGPRS)
	s_endpgm
.LBB23_22:
	s_cbranch_execnz .LBB23_26
; %bb.23:
	s_or_b32 s0, s0, exec_lo
	s_or_b32 exec_lo, exec_lo, s1
	s_delay_alu instid0(SALU_CYCLE_1)
	s_and_b32 exec_lo, exec_lo, s0
	s_cbranch_execnz .LBB23_20
	s_branch .LBB23_21
.LBB23_24:
	s_cbranch_execnz .LBB23_28
; %bb.25:
	s_mov_b32 s0, exec_lo
	s_branch .LBB23_17
.LBB23_26:
	s_trap 2
	s_sendmsg_rtn_b32 s0, sendmsg(MSG_RTN_GET_DOORBELL)
	s_mov_b32 ttmp2, m0
	s_waitcnt lgkmcnt(0)
	s_and_b32 s0, s0, 0x3ff
	s_delay_alu instid0(SALU_CYCLE_1) | instskip(NEXT) | instid1(SALU_CYCLE_1)
	s_bitset1_b32 s0, 10
	s_mov_b32 m0, s0
	s_sendmsg sendmsg(MSG_INTERRUPT)
	s_mov_b32 m0, ttmp2
.LBB23_27:                              ; =>This Inner Loop Header: Depth=1
	s_sethalt 5
	s_branch .LBB23_27
.LBB23_28:
	s_trap 2
	s_sendmsg_rtn_b32 s0, sendmsg(MSG_RTN_GET_DOORBELL)
	s_mov_b32 ttmp2, m0
	s_waitcnt lgkmcnt(0)
	s_and_b32 s0, s0, 0x3ff
	s_delay_alu instid0(SALU_CYCLE_1) | instskip(NEXT) | instid1(SALU_CYCLE_1)
	s_bitset1_b32 s0, 10
	s_mov_b32 m0, s0
	s_sendmsg sendmsg(MSG_INTERRUPT)
	s_mov_b32 m0, ttmp2
.LBB23_29:                              ; =>This Inner Loop Header: Depth=1
	s_sethalt 5
	s_branch .LBB23_29
	.section	.rodata,"a",@progbits
	.p2align	6, 0x0
	.amdhsa_kernel _ZN2at6native12_GLOBAL__N_126nll_loss2d_backward_kernelIN3c108BFloat16EEEvPT_PKS5_PKlS8_S8_biiil
		.amdhsa_group_segment_fixed_size 0
		.amdhsa_private_segment_fixed_size 0
		.amdhsa_kernarg_size 320
		.amdhsa_user_sgpr_count 15
		.amdhsa_user_sgpr_dispatch_ptr 0
		.amdhsa_user_sgpr_queue_ptr 0
		.amdhsa_user_sgpr_kernarg_segment_ptr 1
		.amdhsa_user_sgpr_dispatch_id 0
		.amdhsa_user_sgpr_private_segment_size 0
		.amdhsa_wavefront_size32 1
		.amdhsa_uses_dynamic_stack 0
		.amdhsa_enable_private_segment 0
		.amdhsa_system_sgpr_workgroup_id_x 1
		.amdhsa_system_sgpr_workgroup_id_y 0
		.amdhsa_system_sgpr_workgroup_id_z 0
		.amdhsa_system_sgpr_workgroup_info 0
		.amdhsa_system_vgpr_workitem_id 0
		.amdhsa_next_free_vgpr 10
		.amdhsa_next_free_sgpr 29
		.amdhsa_reserve_vcc 1
		.amdhsa_float_round_mode_32 0
		.amdhsa_float_round_mode_16_64 0
		.amdhsa_float_denorm_mode_32 3
		.amdhsa_float_denorm_mode_16_64 3
		.amdhsa_dx10_clamp 1
		.amdhsa_ieee_mode 1
		.amdhsa_fp16_overflow 0
		.amdhsa_workgroup_processor_mode 1
		.amdhsa_memory_ordered 1
		.amdhsa_forward_progress 0
		.amdhsa_shared_vgpr_count 0
		.amdhsa_exception_fp_ieee_invalid_op 0
		.amdhsa_exception_fp_denorm_src 0
		.amdhsa_exception_fp_ieee_div_zero 0
		.amdhsa_exception_fp_ieee_overflow 0
		.amdhsa_exception_fp_ieee_underflow 0
		.amdhsa_exception_fp_ieee_inexact 0
		.amdhsa_exception_int_div_zero 0
	.end_amdhsa_kernel
	.section	.text._ZN2at6native12_GLOBAL__N_126nll_loss2d_backward_kernelIN3c108BFloat16EEEvPT_PKS5_PKlS8_S8_biiil,"axG",@progbits,_ZN2at6native12_GLOBAL__N_126nll_loss2d_backward_kernelIN3c108BFloat16EEEvPT_PKS5_PKlS8_S8_biiil,comdat
.Lfunc_end23:
	.size	_ZN2at6native12_GLOBAL__N_126nll_loss2d_backward_kernelIN3c108BFloat16EEEvPT_PKS5_PKlS8_S8_biiil, .Lfunc_end23-_ZN2at6native12_GLOBAL__N_126nll_loss2d_backward_kernelIN3c108BFloat16EEEvPT_PKS5_PKlS8_S8_biiil
                                        ; -- End function
	.section	.AMDGPU.csdata,"",@progbits
; Kernel info:
; codeLenInByte = 1248
; NumSgprs: 31
; NumVgprs: 10
; ScratchSize: 0
; MemoryBound: 0
; FloatMode: 240
; IeeeMode: 1
; LDSByteSize: 0 bytes/workgroup (compile time only)
; SGPRBlocks: 3
; VGPRBlocks: 1
; NumSGPRsForWavesPerEU: 31
; NumVGPRsForWavesPerEU: 10
; Occupancy: 16
; WaveLimiterHint : 1
; COMPUTE_PGM_RSRC2:SCRATCH_EN: 0
; COMPUTE_PGM_RSRC2:USER_SGPR: 15
; COMPUTE_PGM_RSRC2:TRAP_HANDLER: 0
; COMPUTE_PGM_RSRC2:TGID_X_EN: 1
; COMPUTE_PGM_RSRC2:TGID_Y_EN: 0
; COMPUTE_PGM_RSRC2:TGID_Z_EN: 0
; COMPUTE_PGM_RSRC2:TIDIG_COMP_CNT: 0
	.text
	.p2alignl 7, 3214868480
	.fill 96, 4, 3214868480
	.type	__hip_cuid_98a9f1c54f223254,@object ; @__hip_cuid_98a9f1c54f223254
	.section	.bss,"aw",@nobits
	.globl	__hip_cuid_98a9f1c54f223254
__hip_cuid_98a9f1c54f223254:
	.byte	0                               ; 0x0
	.size	__hip_cuid_98a9f1c54f223254, 1

	.ident	"AMD clang version 19.0.0git (https://github.com/RadeonOpenCompute/llvm-project roc-6.4.0 25133 c7fe45cf4b819c5991fe208aaa96edf142730f1d)"
	.section	".note.GNU-stack","",@progbits
	.addrsig
	.addrsig_sym __hip_cuid_98a9f1c54f223254
	.amdgpu_metadata
---
amdhsa.kernels:
  - .args:
      - .offset:         0
        .size:           8
        .value_kind:     by_value
      - .offset:         8
        .size:           72
        .value_kind:     by_value
      - .offset:         80
        .size:           56
        .value_kind:     by_value
      - .offset:         136
        .size:           56
        .value_kind:     by_value
      - .address_space:  global
        .offset:         192
        .size:           8
        .value_kind:     global_buffer
      - .offset:         200
        .size:           8
        .value_kind:     by_value
      - .offset:         208
        .size:           4
        .value_kind:     hidden_block_count_x
      - .offset:         212
        .size:           4
        .value_kind:     hidden_block_count_y
      - .offset:         216
        .size:           4
        .value_kind:     hidden_block_count_z
      - .offset:         220
        .size:           2
        .value_kind:     hidden_group_size_x
      - .offset:         222
        .size:           2
        .value_kind:     hidden_group_size_y
      - .offset:         224
        .size:           2
        .value_kind:     hidden_group_size_z
      - .offset:         226
        .size:           2
        .value_kind:     hidden_remainder_x
      - .offset:         228
        .size:           2
        .value_kind:     hidden_remainder_y
      - .offset:         230
        .size:           2
        .value_kind:     hidden_remainder_z
      - .offset:         248
        .size:           8
        .value_kind:     hidden_global_offset_x
      - .offset:         256
        .size:           8
        .value_kind:     hidden_global_offset_y
      - .offset:         264
        .size:           8
        .value_kind:     hidden_global_offset_z
      - .offset:         272
        .size:           2
        .value_kind:     hidden_grid_dims
    .group_segment_fixed_size: 0
    .kernarg_segment_align: 8
    .kernarg_segment_size: 464
    .language:       OpenCL C
    .language_version:
      - 2
      - 0
    .max_flat_workgroup_size: 1024
    .name:           _ZN2at6native12_GLOBAL__N_135nll_loss2d_forward_no_reduce_kernelIdEEvlN5torch10headeronly6detail27GenericPackedTensorAccessorINS5_14TensorAccessorIN3c108ArrayRefIlEET_Lm3ENS4_16DefaultPtrTraitsElEENS_6detail16IndexBoundsCheckILm4ElEESB_Lm4ESC_lEENS6_INS7_ISA_lLm2ESC_lEENSF_ILm3ElEElLm3ESC_lEENS6_INS7_ISA_SB_Lm2ESC_lEESJ_SB_Lm3ESC_lEEPKSB_l
    .private_segment_fixed_size: 0
    .sgpr_count:     58
    .sgpr_spill_count: 0
    .symbol:         _ZN2at6native12_GLOBAL__N_135nll_loss2d_forward_no_reduce_kernelIdEEvlN5torch10headeronly6detail27GenericPackedTensorAccessorINS5_14TensorAccessorIN3c108ArrayRefIlEET_Lm3ENS4_16DefaultPtrTraitsElEENS_6detail16IndexBoundsCheckILm4ElEESB_Lm4ESC_lEENS6_INS7_ISA_lLm2ESC_lEENSF_ILm3ElEElLm3ESC_lEENS6_INS7_ISA_SB_Lm2ESC_lEESJ_SB_Lm3ESC_lEEPKSB_l.kd
    .uniform_work_group_size: 1
    .uses_dynamic_stack: false
    .vgpr_count:     26
    .vgpr_spill_count: 0
    .wavefront_size: 32
    .workgroup_processor_mode: 1
  - .args:
      - .offset:         0
        .size:           8
        .value_kind:     by_value
      - .offset:         8
        .size:           72
        .value_kind:     by_value
      - .offset:         80
        .size:           56
        .value_kind:     by_value
      - .offset:         136
        .size:           56
        .value_kind:     by_value
      - .address_space:  global
        .offset:         192
        .size:           8
        .value_kind:     global_buffer
      - .offset:         200
        .size:           8
        .value_kind:     by_value
      - .offset:         208
        .size:           4
        .value_kind:     hidden_block_count_x
      - .offset:         212
        .size:           4
        .value_kind:     hidden_block_count_y
      - .offset:         216
        .size:           4
        .value_kind:     hidden_block_count_z
      - .offset:         220
        .size:           2
        .value_kind:     hidden_group_size_x
      - .offset:         222
        .size:           2
        .value_kind:     hidden_group_size_y
      - .offset:         224
        .size:           2
        .value_kind:     hidden_group_size_z
      - .offset:         226
        .size:           2
        .value_kind:     hidden_remainder_x
      - .offset:         228
        .size:           2
        .value_kind:     hidden_remainder_y
      - .offset:         230
        .size:           2
        .value_kind:     hidden_remainder_z
      - .offset:         248
        .size:           8
        .value_kind:     hidden_global_offset_x
      - .offset:         256
        .size:           8
        .value_kind:     hidden_global_offset_y
      - .offset:         264
        .size:           8
        .value_kind:     hidden_global_offset_z
      - .offset:         272
        .size:           2
        .value_kind:     hidden_grid_dims
    .group_segment_fixed_size: 0
    .kernarg_segment_align: 8
    .kernarg_segment_size: 464
    .language:       OpenCL C
    .language_version:
      - 2
      - 0
    .max_flat_workgroup_size: 1024
    .name:           _ZN2at6native12_GLOBAL__N_135nll_loss2d_forward_no_reduce_kernelIfEEvlN5torch10headeronly6detail27GenericPackedTensorAccessorINS5_14TensorAccessorIN3c108ArrayRefIlEET_Lm3ENS4_16DefaultPtrTraitsElEENS_6detail16IndexBoundsCheckILm4ElEESB_Lm4ESC_lEENS6_INS7_ISA_lLm2ESC_lEENSF_ILm3ElEElLm3ESC_lEENS6_INS7_ISA_SB_Lm2ESC_lEESJ_SB_Lm3ESC_lEEPKSB_l
    .private_segment_fixed_size: 0
    .sgpr_count:     58
    .sgpr_spill_count: 0
    .symbol:         _ZN2at6native12_GLOBAL__N_135nll_loss2d_forward_no_reduce_kernelIfEEvlN5torch10headeronly6detail27GenericPackedTensorAccessorINS5_14TensorAccessorIN3c108ArrayRefIlEET_Lm3ENS4_16DefaultPtrTraitsElEENS_6detail16IndexBoundsCheckILm4ElEESB_Lm4ESC_lEENS6_INS7_ISA_lLm2ESC_lEENSF_ILm3ElEElLm3ESC_lEENS6_INS7_ISA_SB_Lm2ESC_lEESJ_SB_Lm3ESC_lEEPKSB_l.kd
    .uniform_work_group_size: 1
    .uses_dynamic_stack: false
    .vgpr_count:     26
    .vgpr_spill_count: 0
    .wavefront_size: 32
    .workgroup_processor_mode: 1
  - .args:
      - .offset:         0
        .size:           8
        .value_kind:     by_value
      - .offset:         8
        .size:           72
        .value_kind:     by_value
      - .offset:         80
        .size:           56
        .value_kind:     by_value
      - .offset:         136
        .size:           56
        .value_kind:     by_value
      - .address_space:  global
        .offset:         192
        .size:           8
        .value_kind:     global_buffer
      - .offset:         200
        .size:           8
        .value_kind:     by_value
      - .offset:         208
        .size:           4
        .value_kind:     hidden_block_count_x
      - .offset:         212
        .size:           4
        .value_kind:     hidden_block_count_y
      - .offset:         216
        .size:           4
        .value_kind:     hidden_block_count_z
      - .offset:         220
        .size:           2
        .value_kind:     hidden_group_size_x
      - .offset:         222
        .size:           2
        .value_kind:     hidden_group_size_y
      - .offset:         224
        .size:           2
        .value_kind:     hidden_group_size_z
      - .offset:         226
        .size:           2
        .value_kind:     hidden_remainder_x
      - .offset:         228
        .size:           2
        .value_kind:     hidden_remainder_y
      - .offset:         230
        .size:           2
        .value_kind:     hidden_remainder_z
      - .offset:         248
        .size:           8
        .value_kind:     hidden_global_offset_x
      - .offset:         256
        .size:           8
        .value_kind:     hidden_global_offset_y
      - .offset:         264
        .size:           8
        .value_kind:     hidden_global_offset_z
      - .offset:         272
        .size:           2
        .value_kind:     hidden_grid_dims
    .group_segment_fixed_size: 0
    .kernarg_segment_align: 8
    .kernarg_segment_size: 464
    .language:       OpenCL C
    .language_version:
      - 2
      - 0
    .max_flat_workgroup_size: 1024
    .name:           _ZN2at6native12_GLOBAL__N_135nll_loss2d_forward_no_reduce_kernelIN3c104HalfEEEvlN5torch10headeronly6detail27GenericPackedTensorAccessorINS7_14TensorAccessorINS3_8ArrayRefIlEET_Lm3ENS6_16DefaultPtrTraitsElEENS_6detail16IndexBoundsCheckILm4ElEESC_Lm4ESD_lEENS8_INS9_ISB_lLm2ESD_lEENSG_ILm3ElEElLm3ESD_lEENS8_INS9_ISB_SC_Lm2ESD_lEESK_SC_Lm3ESD_lEEPKSC_l
    .private_segment_fixed_size: 0
    .sgpr_count:     58
    .sgpr_spill_count: 0
    .symbol:         _ZN2at6native12_GLOBAL__N_135nll_loss2d_forward_no_reduce_kernelIN3c104HalfEEEvlN5torch10headeronly6detail27GenericPackedTensorAccessorINS7_14TensorAccessorINS3_8ArrayRefIlEET_Lm3ENS6_16DefaultPtrTraitsElEENS_6detail16IndexBoundsCheckILm4ElEESC_Lm4ESD_lEENS8_INS9_ISB_lLm2ESD_lEENSG_ILm3ElEElLm3ESD_lEENS8_INS9_ISB_SC_Lm2ESD_lEESK_SC_Lm3ESD_lEEPKSC_l.kd
    .uniform_work_group_size: 1
    .uses_dynamic_stack: false
    .vgpr_count:     26
    .vgpr_spill_count: 0
    .wavefront_size: 32
    .workgroup_processor_mode: 1
  - .args:
      - .offset:         0
        .size:           8
        .value_kind:     by_value
      - .offset:         8
        .size:           72
        .value_kind:     by_value
      - .offset:         80
        .size:           56
        .value_kind:     by_value
      - .offset:         136
        .size:           56
        .value_kind:     by_value
      - .address_space:  global
        .offset:         192
        .size:           8
        .value_kind:     global_buffer
      - .offset:         200
        .size:           8
        .value_kind:     by_value
      - .offset:         208
        .size:           4
        .value_kind:     hidden_block_count_x
      - .offset:         212
        .size:           4
        .value_kind:     hidden_block_count_y
      - .offset:         216
        .size:           4
        .value_kind:     hidden_block_count_z
      - .offset:         220
        .size:           2
        .value_kind:     hidden_group_size_x
      - .offset:         222
        .size:           2
        .value_kind:     hidden_group_size_y
      - .offset:         224
        .size:           2
        .value_kind:     hidden_group_size_z
      - .offset:         226
        .size:           2
        .value_kind:     hidden_remainder_x
      - .offset:         228
        .size:           2
        .value_kind:     hidden_remainder_y
      - .offset:         230
        .size:           2
        .value_kind:     hidden_remainder_z
      - .offset:         248
        .size:           8
        .value_kind:     hidden_global_offset_x
      - .offset:         256
        .size:           8
        .value_kind:     hidden_global_offset_y
      - .offset:         264
        .size:           8
        .value_kind:     hidden_global_offset_z
      - .offset:         272
        .size:           2
        .value_kind:     hidden_grid_dims
    .group_segment_fixed_size: 0
    .kernarg_segment_align: 8
    .kernarg_segment_size: 464
    .language:       OpenCL C
    .language_version:
      - 2
      - 0
    .max_flat_workgroup_size: 1024
    .name:           _ZN2at6native12_GLOBAL__N_135nll_loss2d_forward_no_reduce_kernelIN3c108BFloat16EEEvlN5torch10headeronly6detail27GenericPackedTensorAccessorINS7_14TensorAccessorINS3_8ArrayRefIlEET_Lm3ENS6_16DefaultPtrTraitsElEENS_6detail16IndexBoundsCheckILm4ElEESC_Lm4ESD_lEENS8_INS9_ISB_lLm2ESD_lEENSG_ILm3ElEElLm3ESD_lEENS8_INS9_ISB_SC_Lm2ESD_lEESK_SC_Lm3ESD_lEEPKSC_l
    .private_segment_fixed_size: 0
    .sgpr_count:     58
    .sgpr_spill_count: 0
    .symbol:         _ZN2at6native12_GLOBAL__N_135nll_loss2d_forward_no_reduce_kernelIN3c108BFloat16EEEvlN5torch10headeronly6detail27GenericPackedTensorAccessorINS7_14TensorAccessorINS3_8ArrayRefIlEET_Lm3ENS6_16DefaultPtrTraitsElEENS_6detail16IndexBoundsCheckILm4ElEESC_Lm4ESD_lEENS8_INS9_ISB_lLm2ESD_lEENSG_ILm3ElEElLm3ESD_lEENS8_INS9_ISB_SC_Lm2ESD_lEESK_SC_Lm3ESD_lEEPKSC_l.kd
    .uniform_work_group_size: 1
    .uses_dynamic_stack: false
    .vgpr_count:     26
    .vgpr_spill_count: 0
    .wavefront_size: 32
    .workgroup_processor_mode: 1
  - .args:
      - .address_space:  global
        .offset:         0
        .size:           8
        .value_kind:     global_buffer
      - .address_space:  global
        .offset:         8
        .size:           8
        .value_kind:     global_buffer
      - .address_space:  global
        .offset:         16
        .size:           8
        .value_kind:     global_buffer
      - .address_space:  global
        .offset:         24
        .size:           8
        .value_kind:     global_buffer
      - .address_space:  global
        .offset:         32
        .size:           8
        .value_kind:     global_buffer
      - .offset:         40
        .size:           4
        .value_kind:     by_value
      - .offset:         44
        .size:           4
        .value_kind:     by_value
      - .offset:         48
        .size:           4
        .value_kind:     by_value
      - .offset:         56
        .size:           8
        .value_kind:     by_value
      - .offset:         64
        .size:           4
        .value_kind:     hidden_block_count_x
      - .offset:         68
        .size:           4
        .value_kind:     hidden_block_count_y
      - .offset:         72
        .size:           4
        .value_kind:     hidden_block_count_z
      - .offset:         76
        .size:           2
        .value_kind:     hidden_group_size_x
      - .offset:         78
        .size:           2
        .value_kind:     hidden_group_size_y
      - .offset:         80
        .size:           2
        .value_kind:     hidden_group_size_z
      - .offset:         82
        .size:           2
        .value_kind:     hidden_remainder_x
      - .offset:         84
        .size:           2
        .value_kind:     hidden_remainder_y
      - .offset:         86
        .size:           2
        .value_kind:     hidden_remainder_z
      - .offset:         104
        .size:           8
        .value_kind:     hidden_global_offset_x
      - .offset:         112
        .size:           8
        .value_kind:     hidden_global_offset_y
      - .offset:         120
        .size:           8
        .value_kind:     hidden_global_offset_z
      - .offset:         128
        .size:           2
        .value_kind:     hidden_grid_dims
    .group_segment_fixed_size: 16384
    .kernarg_segment_align: 8
    .kernarg_segment_size: 320
    .language:       OpenCL C
    .language_version:
      - 2
      - 0
    .max_flat_workgroup_size: 1024
    .name:           _ZN2at6native12_GLOBAL__N_125nll_loss2d_forward_kernelIddiEEvPT_S4_PKS3_PKlS6_iiil
    .private_segment_fixed_size: 0
    .sgpr_count:     30
    .sgpr_spill_count: 0
    .symbol:         _ZN2at6native12_GLOBAL__N_125nll_loss2d_forward_kernelIddiEEvPT_S4_PKS3_PKlS6_iiil.kd
    .uniform_work_group_size: 1
    .uses_dynamic_stack: false
    .vgpr_count:     15
    .vgpr_spill_count: 0
    .wavefront_size: 32
    .workgroup_processor_mode: 1
  - .args:
      - .address_space:  global
        .offset:         0
        .size:           8
        .value_kind:     global_buffer
      - .address_space:  global
        .offset:         8
        .size:           8
        .value_kind:     global_buffer
    .group_segment_fixed_size: 0
    .kernarg_segment_align: 8
    .kernarg_segment_size: 16
    .language:       OpenCL C
    .language_version:
      - 2
      - 0
    .max_flat_workgroup_size: 1024
    .name:           _ZN2at6native12_GLOBAL__N_138nll_loss2d_forward_size_average_kernelIdEEvPT_PKS3_
    .private_segment_fixed_size: 0
    .sgpr_count:     8
    .sgpr_spill_count: 0
    .symbol:         _ZN2at6native12_GLOBAL__N_138nll_loss2d_forward_size_average_kernelIdEEvPT_PKS3_.kd
    .uniform_work_group_size: 1
    .uses_dynamic_stack: false
    .vgpr_count:     8
    .vgpr_spill_count: 0
    .wavefront_size: 32
    .workgroup_processor_mode: 1
  - .args:
      - .address_space:  global
        .offset:         0
        .size:           8
        .value_kind:     global_buffer
      - .address_space:  global
        .offset:         8
        .size:           8
        .value_kind:     global_buffer
      - .address_space:  global
        .offset:         16
        .size:           8
        .value_kind:     global_buffer
      - .address_space:  global
        .offset:         24
        .size:           8
        .value_kind:     global_buffer
      - .address_space:  global
        .offset:         32
        .size:           8
        .value_kind:     global_buffer
      - .offset:         40
        .size:           4
        .value_kind:     by_value
      - .offset:         44
        .size:           4
        .value_kind:     by_value
      - .offset:         48
        .size:           4
        .value_kind:     by_value
      - .offset:         56
        .size:           8
        .value_kind:     by_value
      - .offset:         64
        .size:           4
        .value_kind:     hidden_block_count_x
      - .offset:         68
        .size:           4
        .value_kind:     hidden_block_count_y
      - .offset:         72
        .size:           4
        .value_kind:     hidden_block_count_z
      - .offset:         76
        .size:           2
        .value_kind:     hidden_group_size_x
      - .offset:         78
        .size:           2
        .value_kind:     hidden_group_size_y
      - .offset:         80
        .size:           2
        .value_kind:     hidden_group_size_z
      - .offset:         82
        .size:           2
        .value_kind:     hidden_remainder_x
      - .offset:         84
        .size:           2
        .value_kind:     hidden_remainder_y
      - .offset:         86
        .size:           2
        .value_kind:     hidden_remainder_z
      - .offset:         104
        .size:           8
        .value_kind:     hidden_global_offset_x
      - .offset:         112
        .size:           8
        .value_kind:     hidden_global_offset_y
      - .offset:         120
        .size:           8
        .value_kind:     hidden_global_offset_z
      - .offset:         128
        .size:           2
        .value_kind:     hidden_grid_dims
    .group_segment_fixed_size: 16384
    .kernarg_segment_align: 8
    .kernarg_segment_size: 320
    .language:       OpenCL C
    .language_version:
      - 2
      - 0
    .max_flat_workgroup_size: 1024
    .name:           _ZN2at6native12_GLOBAL__N_125nll_loss2d_forward_kernelIddlEEvPT_S4_PKS3_PKlS6_iiil
    .private_segment_fixed_size: 0
    .sgpr_count:     32
    .sgpr_spill_count: 0
    .symbol:         _ZN2at6native12_GLOBAL__N_125nll_loss2d_forward_kernelIddlEEvPT_S4_PKS3_PKlS6_iiil.kd
    .uniform_work_group_size: 1
    .uses_dynamic_stack: false
    .vgpr_count:     16
    .vgpr_spill_count: 0
    .wavefront_size: 32
    .workgroup_processor_mode: 1
  - .args:
      - .address_space:  global
        .offset:         0
        .size:           8
        .value_kind:     global_buffer
      - .address_space:  global
        .offset:         8
        .size:           8
        .value_kind:     global_buffer
      - .address_space:  global
        .offset:         16
        .size:           8
        .value_kind:     global_buffer
      - .address_space:  global
        .offset:         24
        .size:           8
        .value_kind:     global_buffer
      - .address_space:  global
        .offset:         32
        .size:           8
        .value_kind:     global_buffer
      - .offset:         40
        .size:           4
        .value_kind:     by_value
      - .offset:         44
        .size:           4
        .value_kind:     by_value
      - .offset:         48
        .size:           4
        .value_kind:     by_value
      - .offset:         56
        .size:           8
        .value_kind:     by_value
      - .offset:         64
        .size:           4
        .value_kind:     hidden_block_count_x
      - .offset:         68
        .size:           4
        .value_kind:     hidden_block_count_y
      - .offset:         72
        .size:           4
        .value_kind:     hidden_block_count_z
      - .offset:         76
        .size:           2
        .value_kind:     hidden_group_size_x
      - .offset:         78
        .size:           2
        .value_kind:     hidden_group_size_y
      - .offset:         80
        .size:           2
        .value_kind:     hidden_group_size_z
      - .offset:         82
        .size:           2
        .value_kind:     hidden_remainder_x
      - .offset:         84
        .size:           2
        .value_kind:     hidden_remainder_y
      - .offset:         86
        .size:           2
        .value_kind:     hidden_remainder_z
      - .offset:         104
        .size:           8
        .value_kind:     hidden_global_offset_x
      - .offset:         112
        .size:           8
        .value_kind:     hidden_global_offset_y
      - .offset:         120
        .size:           8
        .value_kind:     hidden_global_offset_z
      - .offset:         128
        .size:           2
        .value_kind:     hidden_grid_dims
    .group_segment_fixed_size: 8192
    .kernarg_segment_align: 8
    .kernarg_segment_size: 320
    .language:       OpenCL C
    .language_version:
      - 2
      - 0
    .max_flat_workgroup_size: 1024
    .name:           _ZN2at6native12_GLOBAL__N_125nll_loss2d_forward_kernelIffiEEvPT_S4_PKS3_PKlS6_iiil
    .private_segment_fixed_size: 0
    .sgpr_count:     30
    .sgpr_spill_count: 0
    .symbol:         _ZN2at6native12_GLOBAL__N_125nll_loss2d_forward_kernelIffiEEvPT_S4_PKS3_PKlS6_iiil.kd
    .uniform_work_group_size: 1
    .uses_dynamic_stack: false
    .vgpr_count:     12
    .vgpr_spill_count: 0
    .wavefront_size: 32
    .workgroup_processor_mode: 1
  - .args:
      - .address_space:  global
        .offset:         0
        .size:           8
        .value_kind:     global_buffer
      - .address_space:  global
        .offset:         8
        .size:           8
        .value_kind:     global_buffer
    .group_segment_fixed_size: 0
    .kernarg_segment_align: 8
    .kernarg_segment_size: 16
    .language:       OpenCL C
    .language_version:
      - 2
      - 0
    .max_flat_workgroup_size: 1024
    .name:           _ZN2at6native12_GLOBAL__N_138nll_loss2d_forward_size_average_kernelIfEEvPT_PKS3_
    .private_segment_fixed_size: 0
    .sgpr_count:     6
    .sgpr_spill_count: 0
    .symbol:         _ZN2at6native12_GLOBAL__N_138nll_loss2d_forward_size_average_kernelIfEEvPT_PKS3_.kd
    .uniform_work_group_size: 1
    .uses_dynamic_stack: false
    .vgpr_count:     5
    .vgpr_spill_count: 0
    .wavefront_size: 32
    .workgroup_processor_mode: 1
  - .args:
      - .address_space:  global
        .offset:         0
        .size:           8
        .value_kind:     global_buffer
      - .address_space:  global
        .offset:         8
        .size:           8
        .value_kind:     global_buffer
      - .address_space:  global
        .offset:         16
        .size:           8
        .value_kind:     global_buffer
      - .address_space:  global
        .offset:         24
        .size:           8
        .value_kind:     global_buffer
      - .address_space:  global
        .offset:         32
        .size:           8
        .value_kind:     global_buffer
      - .offset:         40
        .size:           4
        .value_kind:     by_value
      - .offset:         44
        .size:           4
        .value_kind:     by_value
      - .offset:         48
        .size:           4
        .value_kind:     by_value
      - .offset:         56
        .size:           8
        .value_kind:     by_value
      - .offset:         64
        .size:           4
        .value_kind:     hidden_block_count_x
      - .offset:         68
        .size:           4
        .value_kind:     hidden_block_count_y
      - .offset:         72
        .size:           4
        .value_kind:     hidden_block_count_z
      - .offset:         76
        .size:           2
        .value_kind:     hidden_group_size_x
      - .offset:         78
        .size:           2
        .value_kind:     hidden_group_size_y
      - .offset:         80
        .size:           2
        .value_kind:     hidden_group_size_z
      - .offset:         82
        .size:           2
        .value_kind:     hidden_remainder_x
      - .offset:         84
        .size:           2
        .value_kind:     hidden_remainder_y
      - .offset:         86
        .size:           2
        .value_kind:     hidden_remainder_z
      - .offset:         104
        .size:           8
        .value_kind:     hidden_global_offset_x
      - .offset:         112
        .size:           8
        .value_kind:     hidden_global_offset_y
      - .offset:         120
        .size:           8
        .value_kind:     hidden_global_offset_z
      - .offset:         128
        .size:           2
        .value_kind:     hidden_grid_dims
    .group_segment_fixed_size: 8192
    .kernarg_segment_align: 8
    .kernarg_segment_size: 320
    .language:       OpenCL C
    .language_version:
      - 2
      - 0
    .max_flat_workgroup_size: 1024
    .name:           _ZN2at6native12_GLOBAL__N_125nll_loss2d_forward_kernelIfflEEvPT_S4_PKS3_PKlS6_iiil
    .private_segment_fixed_size: 0
    .sgpr_count:     32
    .sgpr_spill_count: 0
    .symbol:         _ZN2at6native12_GLOBAL__N_125nll_loss2d_forward_kernelIfflEEvPT_S4_PKS3_PKlS6_iiil.kd
    .uniform_work_group_size: 1
    .uses_dynamic_stack: false
    .vgpr_count:     13
    .vgpr_spill_count: 0
    .wavefront_size: 32
    .workgroup_processor_mode: 1
  - .args:
      - .address_space:  global
        .offset:         0
        .size:           8
        .value_kind:     global_buffer
      - .address_space:  global
        .offset:         8
        .size:           8
        .value_kind:     global_buffer
      - .address_space:  global
        .offset:         16
        .size:           8
        .value_kind:     global_buffer
      - .address_space:  global
        .offset:         24
        .size:           8
        .value_kind:     global_buffer
      - .address_space:  global
        .offset:         32
        .size:           8
        .value_kind:     global_buffer
      - .offset:         40
        .size:           4
        .value_kind:     by_value
      - .offset:         44
        .size:           4
        .value_kind:     by_value
      - .offset:         48
        .size:           4
        .value_kind:     by_value
      - .offset:         56
        .size:           8
        .value_kind:     by_value
      - .offset:         64
        .size:           4
        .value_kind:     hidden_block_count_x
      - .offset:         68
        .size:           4
        .value_kind:     hidden_block_count_y
      - .offset:         72
        .size:           4
        .value_kind:     hidden_block_count_z
      - .offset:         76
        .size:           2
        .value_kind:     hidden_group_size_x
      - .offset:         78
        .size:           2
        .value_kind:     hidden_group_size_y
      - .offset:         80
        .size:           2
        .value_kind:     hidden_group_size_z
      - .offset:         82
        .size:           2
        .value_kind:     hidden_remainder_x
      - .offset:         84
        .size:           2
        .value_kind:     hidden_remainder_y
      - .offset:         86
        .size:           2
        .value_kind:     hidden_remainder_z
      - .offset:         104
        .size:           8
        .value_kind:     hidden_global_offset_x
      - .offset:         112
        .size:           8
        .value_kind:     hidden_global_offset_y
      - .offset:         120
        .size:           8
        .value_kind:     hidden_global_offset_z
      - .offset:         128
        .size:           2
        .value_kind:     hidden_grid_dims
    .group_segment_fixed_size: 8192
    .kernarg_segment_align: 8
    .kernarg_segment_size: 320
    .language:       OpenCL C
    .language_version:
      - 2
      - 0
    .max_flat_workgroup_size: 1024
    .name:           _ZN2at6native12_GLOBAL__N_125nll_loss2d_forward_kernelIN3c104HalfEfiEEvPT_S6_PKS5_PKlS8_iiil
    .private_segment_fixed_size: 0
    .sgpr_count:     30
    .sgpr_spill_count: 0
    .symbol:         _ZN2at6native12_GLOBAL__N_125nll_loss2d_forward_kernelIN3c104HalfEfiEEvPT_S6_PKS5_PKlS8_iiil.kd
    .uniform_work_group_size: 1
    .uses_dynamic_stack: false
    .vgpr_count:     12
    .vgpr_spill_count: 0
    .wavefront_size: 32
    .workgroup_processor_mode: 1
  - .args:
      - .address_space:  global
        .offset:         0
        .size:           8
        .value_kind:     global_buffer
      - .address_space:  global
        .offset:         8
        .size:           8
        .value_kind:     global_buffer
    .group_segment_fixed_size: 0
    .kernarg_segment_align: 8
    .kernarg_segment_size: 16
    .language:       OpenCL C
    .language_version:
      - 2
      - 0
    .max_flat_workgroup_size: 1024
    .name:           _ZN2at6native12_GLOBAL__N_138nll_loss2d_forward_size_average_kernelIN3c104HalfEEEvPT_PKS5_
    .private_segment_fixed_size: 0
    .sgpr_count:     4
    .sgpr_spill_count: 0
    .symbol:         _ZN2at6native12_GLOBAL__N_138nll_loss2d_forward_size_average_kernelIN3c104HalfEEEvPT_PKS5_.kd
    .uniform_work_group_size: 1
    .uses_dynamic_stack: false
    .vgpr_count:     6
    .vgpr_spill_count: 0
    .wavefront_size: 32
    .workgroup_processor_mode: 1
  - .args:
      - .address_space:  global
        .offset:         0
        .size:           8
        .value_kind:     global_buffer
      - .address_space:  global
        .offset:         8
        .size:           8
        .value_kind:     global_buffer
      - .address_space:  global
        .offset:         16
        .size:           8
        .value_kind:     global_buffer
      - .address_space:  global
        .offset:         24
        .size:           8
        .value_kind:     global_buffer
      - .address_space:  global
        .offset:         32
        .size:           8
        .value_kind:     global_buffer
      - .offset:         40
        .size:           4
        .value_kind:     by_value
      - .offset:         44
        .size:           4
        .value_kind:     by_value
      - .offset:         48
        .size:           4
        .value_kind:     by_value
      - .offset:         56
        .size:           8
        .value_kind:     by_value
      - .offset:         64
        .size:           4
        .value_kind:     hidden_block_count_x
      - .offset:         68
        .size:           4
        .value_kind:     hidden_block_count_y
      - .offset:         72
        .size:           4
        .value_kind:     hidden_block_count_z
      - .offset:         76
        .size:           2
        .value_kind:     hidden_group_size_x
      - .offset:         78
        .size:           2
        .value_kind:     hidden_group_size_y
      - .offset:         80
        .size:           2
        .value_kind:     hidden_group_size_z
      - .offset:         82
        .size:           2
        .value_kind:     hidden_remainder_x
      - .offset:         84
        .size:           2
        .value_kind:     hidden_remainder_y
      - .offset:         86
        .size:           2
        .value_kind:     hidden_remainder_z
      - .offset:         104
        .size:           8
        .value_kind:     hidden_global_offset_x
      - .offset:         112
        .size:           8
        .value_kind:     hidden_global_offset_y
      - .offset:         120
        .size:           8
        .value_kind:     hidden_global_offset_z
      - .offset:         128
        .size:           2
        .value_kind:     hidden_grid_dims
    .group_segment_fixed_size: 8192
    .kernarg_segment_align: 8
    .kernarg_segment_size: 320
    .language:       OpenCL C
    .language_version:
      - 2
      - 0
    .max_flat_workgroup_size: 1024
    .name:           _ZN2at6native12_GLOBAL__N_125nll_loss2d_forward_kernelIN3c104HalfEflEEvPT_S6_PKS5_PKlS8_iiil
    .private_segment_fixed_size: 0
    .sgpr_count:     32
    .sgpr_spill_count: 0
    .symbol:         _ZN2at6native12_GLOBAL__N_125nll_loss2d_forward_kernelIN3c104HalfEflEEvPT_S6_PKS5_PKlS8_iiil.kd
    .uniform_work_group_size: 1
    .uses_dynamic_stack: false
    .vgpr_count:     13
    .vgpr_spill_count: 0
    .wavefront_size: 32
    .workgroup_processor_mode: 1
  - .args:
      - .address_space:  global
        .offset:         0
        .size:           8
        .value_kind:     global_buffer
      - .address_space:  global
        .offset:         8
        .size:           8
        .value_kind:     global_buffer
      - .address_space:  global
        .offset:         16
        .size:           8
        .value_kind:     global_buffer
      - .address_space:  global
        .offset:         24
        .size:           8
        .value_kind:     global_buffer
      - .address_space:  global
        .offset:         32
        .size:           8
        .value_kind:     global_buffer
      - .offset:         40
        .size:           4
        .value_kind:     by_value
      - .offset:         44
        .size:           4
        .value_kind:     by_value
      - .offset:         48
        .size:           4
        .value_kind:     by_value
      - .offset:         56
        .size:           8
        .value_kind:     by_value
      - .offset:         64
        .size:           4
        .value_kind:     hidden_block_count_x
      - .offset:         68
        .size:           4
        .value_kind:     hidden_block_count_y
      - .offset:         72
        .size:           4
        .value_kind:     hidden_block_count_z
      - .offset:         76
        .size:           2
        .value_kind:     hidden_group_size_x
      - .offset:         78
        .size:           2
        .value_kind:     hidden_group_size_y
      - .offset:         80
        .size:           2
        .value_kind:     hidden_group_size_z
      - .offset:         82
        .size:           2
        .value_kind:     hidden_remainder_x
      - .offset:         84
        .size:           2
        .value_kind:     hidden_remainder_y
      - .offset:         86
        .size:           2
        .value_kind:     hidden_remainder_z
      - .offset:         104
        .size:           8
        .value_kind:     hidden_global_offset_x
      - .offset:         112
        .size:           8
        .value_kind:     hidden_global_offset_y
      - .offset:         120
        .size:           8
        .value_kind:     hidden_global_offset_z
      - .offset:         128
        .size:           2
        .value_kind:     hidden_grid_dims
    .group_segment_fixed_size: 8192
    .kernarg_segment_align: 8
    .kernarg_segment_size: 320
    .language:       OpenCL C
    .language_version:
      - 2
      - 0
    .max_flat_workgroup_size: 1024
    .name:           _ZN2at6native12_GLOBAL__N_125nll_loss2d_forward_kernelIN3c108BFloat16EfiEEvPT_S6_PKS5_PKlS8_iiil
    .private_segment_fixed_size: 0
    .sgpr_count:     30
    .sgpr_spill_count: 0
    .symbol:         _ZN2at6native12_GLOBAL__N_125nll_loss2d_forward_kernelIN3c108BFloat16EfiEEvPT_S6_PKS5_PKlS8_iiil.kd
    .uniform_work_group_size: 1
    .uses_dynamic_stack: false
    .vgpr_count:     12
    .vgpr_spill_count: 0
    .wavefront_size: 32
    .workgroup_processor_mode: 1
  - .args:
      - .address_space:  global
        .offset:         0
        .size:           8
        .value_kind:     global_buffer
      - .address_space:  global
        .offset:         8
        .size:           8
        .value_kind:     global_buffer
    .group_segment_fixed_size: 0
    .kernarg_segment_align: 8
    .kernarg_segment_size: 16
    .language:       OpenCL C
    .language_version:
      - 2
      - 0
    .max_flat_workgroup_size: 1024
    .name:           _ZN2at6native12_GLOBAL__N_138nll_loss2d_forward_size_average_kernelIN3c108BFloat16EEEvPT_PKS5_
    .private_segment_fixed_size: 0
    .sgpr_count:     6
    .sgpr_spill_count: 0
    .symbol:         _ZN2at6native12_GLOBAL__N_138nll_loss2d_forward_size_average_kernelIN3c108BFloat16EEEvPT_PKS5_.kd
    .uniform_work_group_size: 1
    .uses_dynamic_stack: false
    .vgpr_count:     8
    .vgpr_spill_count: 0
    .wavefront_size: 32
    .workgroup_processor_mode: 1
  - .args:
      - .address_space:  global
        .offset:         0
        .size:           8
        .value_kind:     global_buffer
      - .address_space:  global
        .offset:         8
        .size:           8
        .value_kind:     global_buffer
      - .address_space:  global
        .offset:         16
        .size:           8
        .value_kind:     global_buffer
      - .address_space:  global
        .offset:         24
        .size:           8
        .value_kind:     global_buffer
      - .address_space:  global
        .offset:         32
        .size:           8
        .value_kind:     global_buffer
      - .offset:         40
        .size:           4
        .value_kind:     by_value
      - .offset:         44
        .size:           4
        .value_kind:     by_value
      - .offset:         48
        .size:           4
        .value_kind:     by_value
      - .offset:         56
        .size:           8
        .value_kind:     by_value
      - .offset:         64
        .size:           4
        .value_kind:     hidden_block_count_x
      - .offset:         68
        .size:           4
        .value_kind:     hidden_block_count_y
      - .offset:         72
        .size:           4
        .value_kind:     hidden_block_count_z
      - .offset:         76
        .size:           2
        .value_kind:     hidden_group_size_x
      - .offset:         78
        .size:           2
        .value_kind:     hidden_group_size_y
      - .offset:         80
        .size:           2
        .value_kind:     hidden_group_size_z
      - .offset:         82
        .size:           2
        .value_kind:     hidden_remainder_x
      - .offset:         84
        .size:           2
        .value_kind:     hidden_remainder_y
      - .offset:         86
        .size:           2
        .value_kind:     hidden_remainder_z
      - .offset:         104
        .size:           8
        .value_kind:     hidden_global_offset_x
      - .offset:         112
        .size:           8
        .value_kind:     hidden_global_offset_y
      - .offset:         120
        .size:           8
        .value_kind:     hidden_global_offset_z
      - .offset:         128
        .size:           2
        .value_kind:     hidden_grid_dims
    .group_segment_fixed_size: 8192
    .kernarg_segment_align: 8
    .kernarg_segment_size: 320
    .language:       OpenCL C
    .language_version:
      - 2
      - 0
    .max_flat_workgroup_size: 1024
    .name:           _ZN2at6native12_GLOBAL__N_125nll_loss2d_forward_kernelIN3c108BFloat16EflEEvPT_S6_PKS5_PKlS8_iiil
    .private_segment_fixed_size: 0
    .sgpr_count:     32
    .sgpr_spill_count: 0
    .symbol:         _ZN2at6native12_GLOBAL__N_125nll_loss2d_forward_kernelIN3c108BFloat16EflEEvPT_S6_PKS5_PKlS8_iiil.kd
    .uniform_work_group_size: 1
    .uses_dynamic_stack: false
    .vgpr_count:     13
    .vgpr_spill_count: 0
    .wavefront_size: 32
    .workgroup_processor_mode: 1
  - .args:
      - .offset:         0
        .size:           8
        .value_kind:     by_value
      - .offset:         8
        .size:           56
        .value_kind:     by_value
      - .offset:         64
        .size:           56
        .value_kind:     by_value
      - .offset:         120
        .size:           72
        .value_kind:     by_value
      - .address_space:  global
        .offset:         192
        .size:           8
        .value_kind:     global_buffer
      - .offset:         200
        .size:           8
        .value_kind:     by_value
      - .offset:         208
        .size:           4
        .value_kind:     hidden_block_count_x
      - .offset:         212
        .size:           4
        .value_kind:     hidden_block_count_y
      - .offset:         216
        .size:           4
        .value_kind:     hidden_block_count_z
      - .offset:         220
        .size:           2
        .value_kind:     hidden_group_size_x
      - .offset:         222
        .size:           2
        .value_kind:     hidden_group_size_y
      - .offset:         224
        .size:           2
        .value_kind:     hidden_group_size_z
      - .offset:         226
        .size:           2
        .value_kind:     hidden_remainder_x
      - .offset:         228
        .size:           2
        .value_kind:     hidden_remainder_y
      - .offset:         230
        .size:           2
        .value_kind:     hidden_remainder_z
      - .offset:         248
        .size:           8
        .value_kind:     hidden_global_offset_x
      - .offset:         256
        .size:           8
        .value_kind:     hidden_global_offset_y
      - .offset:         264
        .size:           8
        .value_kind:     hidden_global_offset_z
      - .offset:         272
        .size:           2
        .value_kind:     hidden_grid_dims
    .group_segment_fixed_size: 0
    .kernarg_segment_align: 8
    .kernarg_segment_size: 464
    .language:       OpenCL C
    .language_version:
      - 2
      - 0
    .max_flat_workgroup_size: 1024
    .name:           _ZN2at6native12_GLOBAL__N_136nll_loss2d_backward_no_reduce_kernelIdEEvlN5torch10headeronly6detail27GenericPackedTensorAccessorINS5_14TensorAccessorIN3c108ArrayRefIlEElLm2ENS4_16DefaultPtrTraitsElEENS_6detail16IndexBoundsCheckILm3ElEElLm3ESB_lEENS6_INS7_ISA_T_Lm2ESB_lEESF_SH_Lm3ESB_lEENS6_INS7_ISA_SH_Lm3ESB_lEENSE_ILm4ElEESH_Lm4ESB_lEEPKSH_l
    .private_segment_fixed_size: 0
    .sgpr_count:     58
    .sgpr_spill_count: 0
    .symbol:         _ZN2at6native12_GLOBAL__N_136nll_loss2d_backward_no_reduce_kernelIdEEvlN5torch10headeronly6detail27GenericPackedTensorAccessorINS5_14TensorAccessorIN3c108ArrayRefIlEElLm2ENS4_16DefaultPtrTraitsElEENS_6detail16IndexBoundsCheckILm3ElEElLm3ESB_lEENS6_INS7_ISA_T_Lm2ESB_lEESF_SH_Lm3ESB_lEENS6_INS7_ISA_SH_Lm3ESB_lEENSE_ILm4ElEESH_Lm4ESB_lEEPKSH_l.kd
    .uniform_work_group_size: 1
    .uses_dynamic_stack: false
    .vgpr_count:     26
    .vgpr_spill_count: 0
    .wavefront_size: 32
    .workgroup_processor_mode: 1
  - .args:
      - .offset:         0
        .size:           8
        .value_kind:     by_value
      - .offset:         8
        .size:           56
        .value_kind:     by_value
      - .offset:         64
        .size:           56
        .value_kind:     by_value
      - .offset:         120
        .size:           72
        .value_kind:     by_value
      - .address_space:  global
        .offset:         192
        .size:           8
        .value_kind:     global_buffer
      - .offset:         200
        .size:           8
        .value_kind:     by_value
      - .offset:         208
        .size:           4
        .value_kind:     hidden_block_count_x
      - .offset:         212
        .size:           4
        .value_kind:     hidden_block_count_y
      - .offset:         216
        .size:           4
        .value_kind:     hidden_block_count_z
      - .offset:         220
        .size:           2
        .value_kind:     hidden_group_size_x
      - .offset:         222
        .size:           2
        .value_kind:     hidden_group_size_y
      - .offset:         224
        .size:           2
        .value_kind:     hidden_group_size_z
      - .offset:         226
        .size:           2
        .value_kind:     hidden_remainder_x
      - .offset:         228
        .size:           2
        .value_kind:     hidden_remainder_y
      - .offset:         230
        .size:           2
        .value_kind:     hidden_remainder_z
      - .offset:         248
        .size:           8
        .value_kind:     hidden_global_offset_x
      - .offset:         256
        .size:           8
        .value_kind:     hidden_global_offset_y
      - .offset:         264
        .size:           8
        .value_kind:     hidden_global_offset_z
      - .offset:         272
        .size:           2
        .value_kind:     hidden_grid_dims
    .group_segment_fixed_size: 0
    .kernarg_segment_align: 8
    .kernarg_segment_size: 464
    .language:       OpenCL C
    .language_version:
      - 2
      - 0
    .max_flat_workgroup_size: 1024
    .name:           _ZN2at6native12_GLOBAL__N_136nll_loss2d_backward_no_reduce_kernelIfEEvlN5torch10headeronly6detail27GenericPackedTensorAccessorINS5_14TensorAccessorIN3c108ArrayRefIlEElLm2ENS4_16DefaultPtrTraitsElEENS_6detail16IndexBoundsCheckILm3ElEElLm3ESB_lEENS6_INS7_ISA_T_Lm2ESB_lEESF_SH_Lm3ESB_lEENS6_INS7_ISA_SH_Lm3ESB_lEENSE_ILm4ElEESH_Lm4ESB_lEEPKSH_l
    .private_segment_fixed_size: 0
    .sgpr_count:     58
    .sgpr_spill_count: 0
    .symbol:         _ZN2at6native12_GLOBAL__N_136nll_loss2d_backward_no_reduce_kernelIfEEvlN5torch10headeronly6detail27GenericPackedTensorAccessorINS5_14TensorAccessorIN3c108ArrayRefIlEElLm2ENS4_16DefaultPtrTraitsElEENS_6detail16IndexBoundsCheckILm3ElEElLm3ESB_lEENS6_INS7_ISA_T_Lm2ESB_lEESF_SH_Lm3ESB_lEENS6_INS7_ISA_SH_Lm3ESB_lEENSE_ILm4ElEESH_Lm4ESB_lEEPKSH_l.kd
    .uniform_work_group_size: 1
    .uses_dynamic_stack: false
    .vgpr_count:     26
    .vgpr_spill_count: 0
    .wavefront_size: 32
    .workgroup_processor_mode: 1
  - .args:
      - .offset:         0
        .size:           8
        .value_kind:     by_value
      - .offset:         8
        .size:           56
        .value_kind:     by_value
      - .offset:         64
        .size:           56
        .value_kind:     by_value
      - .offset:         120
        .size:           72
        .value_kind:     by_value
      - .address_space:  global
        .offset:         192
        .size:           8
        .value_kind:     global_buffer
      - .offset:         200
        .size:           8
        .value_kind:     by_value
      - .offset:         208
        .size:           4
        .value_kind:     hidden_block_count_x
      - .offset:         212
        .size:           4
        .value_kind:     hidden_block_count_y
      - .offset:         216
        .size:           4
        .value_kind:     hidden_block_count_z
      - .offset:         220
        .size:           2
        .value_kind:     hidden_group_size_x
      - .offset:         222
        .size:           2
        .value_kind:     hidden_group_size_y
      - .offset:         224
        .size:           2
        .value_kind:     hidden_group_size_z
      - .offset:         226
        .size:           2
        .value_kind:     hidden_remainder_x
      - .offset:         228
        .size:           2
        .value_kind:     hidden_remainder_y
      - .offset:         230
        .size:           2
        .value_kind:     hidden_remainder_z
      - .offset:         248
        .size:           8
        .value_kind:     hidden_global_offset_x
      - .offset:         256
        .size:           8
        .value_kind:     hidden_global_offset_y
      - .offset:         264
        .size:           8
        .value_kind:     hidden_global_offset_z
      - .offset:         272
        .size:           2
        .value_kind:     hidden_grid_dims
    .group_segment_fixed_size: 0
    .kernarg_segment_align: 8
    .kernarg_segment_size: 464
    .language:       OpenCL C
    .language_version:
      - 2
      - 0
    .max_flat_workgroup_size: 1024
    .name:           _ZN2at6native12_GLOBAL__N_136nll_loss2d_backward_no_reduce_kernelIN3c104HalfEEEvlN5torch10headeronly6detail27GenericPackedTensorAccessorINS7_14TensorAccessorINS3_8ArrayRefIlEElLm2ENS6_16DefaultPtrTraitsElEENS_6detail16IndexBoundsCheckILm3ElEElLm3ESC_lEENS8_INS9_ISB_T_Lm2ESC_lEESG_SI_Lm3ESC_lEENS8_INS9_ISB_SI_Lm3ESC_lEENSF_ILm4ElEESI_Lm4ESC_lEEPKSI_l
    .private_segment_fixed_size: 0
    .sgpr_count:     58
    .sgpr_spill_count: 0
    .symbol:         _ZN2at6native12_GLOBAL__N_136nll_loss2d_backward_no_reduce_kernelIN3c104HalfEEEvlN5torch10headeronly6detail27GenericPackedTensorAccessorINS7_14TensorAccessorINS3_8ArrayRefIlEElLm2ENS6_16DefaultPtrTraitsElEENS_6detail16IndexBoundsCheckILm3ElEElLm3ESC_lEENS8_INS9_ISB_T_Lm2ESC_lEESG_SI_Lm3ESC_lEENS8_INS9_ISB_SI_Lm3ESC_lEENSF_ILm4ElEESI_Lm4ESC_lEEPKSI_l.kd
    .uniform_work_group_size: 1
    .uses_dynamic_stack: false
    .vgpr_count:     26
    .vgpr_spill_count: 0
    .wavefront_size: 32
    .workgroup_processor_mode: 1
  - .args:
      - .offset:         0
        .size:           8
        .value_kind:     by_value
      - .offset:         8
        .size:           56
        .value_kind:     by_value
      - .offset:         64
        .size:           56
        .value_kind:     by_value
      - .offset:         120
        .size:           72
        .value_kind:     by_value
      - .address_space:  global
        .offset:         192
        .size:           8
        .value_kind:     global_buffer
      - .offset:         200
        .size:           8
        .value_kind:     by_value
      - .offset:         208
        .size:           4
        .value_kind:     hidden_block_count_x
      - .offset:         212
        .size:           4
        .value_kind:     hidden_block_count_y
      - .offset:         216
        .size:           4
        .value_kind:     hidden_block_count_z
      - .offset:         220
        .size:           2
        .value_kind:     hidden_group_size_x
      - .offset:         222
        .size:           2
        .value_kind:     hidden_group_size_y
      - .offset:         224
        .size:           2
        .value_kind:     hidden_group_size_z
      - .offset:         226
        .size:           2
        .value_kind:     hidden_remainder_x
      - .offset:         228
        .size:           2
        .value_kind:     hidden_remainder_y
      - .offset:         230
        .size:           2
        .value_kind:     hidden_remainder_z
      - .offset:         248
        .size:           8
        .value_kind:     hidden_global_offset_x
      - .offset:         256
        .size:           8
        .value_kind:     hidden_global_offset_y
      - .offset:         264
        .size:           8
        .value_kind:     hidden_global_offset_z
      - .offset:         272
        .size:           2
        .value_kind:     hidden_grid_dims
    .group_segment_fixed_size: 0
    .kernarg_segment_align: 8
    .kernarg_segment_size: 464
    .language:       OpenCL C
    .language_version:
      - 2
      - 0
    .max_flat_workgroup_size: 1024
    .name:           _ZN2at6native12_GLOBAL__N_136nll_loss2d_backward_no_reduce_kernelIN3c108BFloat16EEEvlN5torch10headeronly6detail27GenericPackedTensorAccessorINS7_14TensorAccessorINS3_8ArrayRefIlEElLm2ENS6_16DefaultPtrTraitsElEENS_6detail16IndexBoundsCheckILm3ElEElLm3ESC_lEENS8_INS9_ISB_T_Lm2ESC_lEESG_SI_Lm3ESC_lEENS8_INS9_ISB_SI_Lm3ESC_lEENSF_ILm4ElEESI_Lm4ESC_lEEPKSI_l
    .private_segment_fixed_size: 0
    .sgpr_count:     58
    .sgpr_spill_count: 0
    .symbol:         _ZN2at6native12_GLOBAL__N_136nll_loss2d_backward_no_reduce_kernelIN3c108BFloat16EEEvlN5torch10headeronly6detail27GenericPackedTensorAccessorINS7_14TensorAccessorINS3_8ArrayRefIlEElLm2ENS6_16DefaultPtrTraitsElEENS_6detail16IndexBoundsCheckILm3ElEElLm3ESC_lEENS8_INS9_ISB_T_Lm2ESC_lEESG_SI_Lm3ESC_lEENS8_INS9_ISB_SI_Lm3ESC_lEENSF_ILm4ElEESI_Lm4ESC_lEEPKSI_l.kd
    .uniform_work_group_size: 1
    .uses_dynamic_stack: false
    .vgpr_count:     26
    .vgpr_spill_count: 0
    .wavefront_size: 32
    .workgroup_processor_mode: 1
  - .args:
      - .address_space:  global
        .offset:         0
        .size:           8
        .value_kind:     global_buffer
      - .address_space:  global
        .offset:         8
        .size:           8
        .value_kind:     global_buffer
      - .address_space:  global
        .offset:         16
        .size:           8
        .value_kind:     global_buffer
      - .address_space:  global
        .offset:         24
        .size:           8
        .value_kind:     global_buffer
      - .address_space:  global
        .offset:         32
        .size:           8
        .value_kind:     global_buffer
      - .offset:         40
        .size:           1
        .value_kind:     by_value
      - .offset:         44
        .size:           4
        .value_kind:     by_value
      - .offset:         48
        .size:           4
        .value_kind:     by_value
      - .offset:         52
        .size:           4
        .value_kind:     by_value
      - .offset:         56
        .size:           8
        .value_kind:     by_value
      - .offset:         64
        .size:           4
        .value_kind:     hidden_block_count_x
      - .offset:         68
        .size:           4
        .value_kind:     hidden_block_count_y
      - .offset:         72
        .size:           4
        .value_kind:     hidden_block_count_z
      - .offset:         76
        .size:           2
        .value_kind:     hidden_group_size_x
      - .offset:         78
        .size:           2
        .value_kind:     hidden_group_size_y
      - .offset:         80
        .size:           2
        .value_kind:     hidden_group_size_z
      - .offset:         82
        .size:           2
        .value_kind:     hidden_remainder_x
      - .offset:         84
        .size:           2
        .value_kind:     hidden_remainder_y
      - .offset:         86
        .size:           2
        .value_kind:     hidden_remainder_z
      - .offset:         104
        .size:           8
        .value_kind:     hidden_global_offset_x
      - .offset:         112
        .size:           8
        .value_kind:     hidden_global_offset_y
      - .offset:         120
        .size:           8
        .value_kind:     hidden_global_offset_z
      - .offset:         128
        .size:           2
        .value_kind:     hidden_grid_dims
    .group_segment_fixed_size: 0
    .kernarg_segment_align: 8
    .kernarg_segment_size: 320
    .language:       OpenCL C
    .language_version:
      - 2
      - 0
    .max_flat_workgroup_size: 1024
    .name:           _ZN2at6native12_GLOBAL__N_126nll_loss2d_backward_kernelIdEEvPT_PKS3_PKlS6_S6_biiil
    .private_segment_fixed_size: 0
    .sgpr_count:     29
    .sgpr_spill_count: 0
    .symbol:         _ZN2at6native12_GLOBAL__N_126nll_loss2d_backward_kernelIdEEvPT_PKS3_PKlS6_S6_biiil.kd
    .uniform_work_group_size: 1
    .uses_dynamic_stack: false
    .vgpr_count:     15
    .vgpr_spill_count: 0
    .wavefront_size: 32
    .workgroup_processor_mode: 1
  - .args:
      - .address_space:  global
        .offset:         0
        .size:           8
        .value_kind:     global_buffer
      - .address_space:  global
        .offset:         8
        .size:           8
        .value_kind:     global_buffer
      - .address_space:  global
        .offset:         16
        .size:           8
        .value_kind:     global_buffer
      - .address_space:  global
        .offset:         24
        .size:           8
        .value_kind:     global_buffer
      - .address_space:  global
        .offset:         32
        .size:           8
        .value_kind:     global_buffer
      - .offset:         40
        .size:           1
        .value_kind:     by_value
      - .offset:         44
        .size:           4
        .value_kind:     by_value
      - .offset:         48
        .size:           4
        .value_kind:     by_value
      - .offset:         52
        .size:           4
        .value_kind:     by_value
      - .offset:         56
        .size:           8
        .value_kind:     by_value
      - .offset:         64
        .size:           4
        .value_kind:     hidden_block_count_x
      - .offset:         68
        .size:           4
        .value_kind:     hidden_block_count_y
      - .offset:         72
        .size:           4
        .value_kind:     hidden_block_count_z
      - .offset:         76
        .size:           2
        .value_kind:     hidden_group_size_x
      - .offset:         78
        .size:           2
        .value_kind:     hidden_group_size_y
      - .offset:         80
        .size:           2
        .value_kind:     hidden_group_size_z
      - .offset:         82
        .size:           2
        .value_kind:     hidden_remainder_x
      - .offset:         84
        .size:           2
        .value_kind:     hidden_remainder_y
      - .offset:         86
        .size:           2
        .value_kind:     hidden_remainder_z
      - .offset:         104
        .size:           8
        .value_kind:     hidden_global_offset_x
      - .offset:         112
        .size:           8
        .value_kind:     hidden_global_offset_y
      - .offset:         120
        .size:           8
        .value_kind:     hidden_global_offset_z
      - .offset:         128
        .size:           2
        .value_kind:     hidden_grid_dims
    .group_segment_fixed_size: 0
    .kernarg_segment_align: 8
    .kernarg_segment_size: 320
    .language:       OpenCL C
    .language_version:
      - 2
      - 0
    .max_flat_workgroup_size: 1024
    .name:           _ZN2at6native12_GLOBAL__N_126nll_loss2d_backward_kernelIfEEvPT_PKS3_PKlS6_S6_biiil
    .private_segment_fixed_size: 0
    .sgpr_count:     29
    .sgpr_spill_count: 0
    .symbol:         _ZN2at6native12_GLOBAL__N_126nll_loss2d_backward_kernelIfEEvPT_PKS3_PKlS6_S6_biiil.kd
    .uniform_work_group_size: 1
    .uses_dynamic_stack: false
    .vgpr_count:     12
    .vgpr_spill_count: 0
    .wavefront_size: 32
    .workgroup_processor_mode: 1
  - .args:
      - .address_space:  global
        .offset:         0
        .size:           8
        .value_kind:     global_buffer
      - .address_space:  global
        .offset:         8
        .size:           8
        .value_kind:     global_buffer
      - .address_space:  global
        .offset:         16
        .size:           8
        .value_kind:     global_buffer
      - .address_space:  global
        .offset:         24
        .size:           8
        .value_kind:     global_buffer
      - .address_space:  global
        .offset:         32
        .size:           8
        .value_kind:     global_buffer
      - .offset:         40
        .size:           1
        .value_kind:     by_value
      - .offset:         44
        .size:           4
        .value_kind:     by_value
      - .offset:         48
        .size:           4
        .value_kind:     by_value
      - .offset:         52
        .size:           4
        .value_kind:     by_value
      - .offset:         56
        .size:           8
        .value_kind:     by_value
      - .offset:         64
        .size:           4
        .value_kind:     hidden_block_count_x
      - .offset:         68
        .size:           4
        .value_kind:     hidden_block_count_y
      - .offset:         72
        .size:           4
        .value_kind:     hidden_block_count_z
      - .offset:         76
        .size:           2
        .value_kind:     hidden_group_size_x
      - .offset:         78
        .size:           2
        .value_kind:     hidden_group_size_y
      - .offset:         80
        .size:           2
        .value_kind:     hidden_group_size_z
      - .offset:         82
        .size:           2
        .value_kind:     hidden_remainder_x
      - .offset:         84
        .size:           2
        .value_kind:     hidden_remainder_y
      - .offset:         86
        .size:           2
        .value_kind:     hidden_remainder_z
      - .offset:         104
        .size:           8
        .value_kind:     hidden_global_offset_x
      - .offset:         112
        .size:           8
        .value_kind:     hidden_global_offset_y
      - .offset:         120
        .size:           8
        .value_kind:     hidden_global_offset_z
      - .offset:         128
        .size:           2
        .value_kind:     hidden_grid_dims
    .group_segment_fixed_size: 0
    .kernarg_segment_align: 8
    .kernarg_segment_size: 320
    .language:       OpenCL C
    .language_version:
      - 2
      - 0
    .max_flat_workgroup_size: 1024
    .name:           _ZN2at6native12_GLOBAL__N_126nll_loss2d_backward_kernelIN3c104HalfEEEvPT_PKS5_PKlS8_S8_biiil
    .private_segment_fixed_size: 0
    .sgpr_count:     29
    .sgpr_spill_count: 0
    .symbol:         _ZN2at6native12_GLOBAL__N_126nll_loss2d_backward_kernelIN3c104HalfEEEvPT_PKS5_PKlS8_S8_biiil.kd
    .uniform_work_group_size: 1
    .uses_dynamic_stack: false
    .vgpr_count:     12
    .vgpr_spill_count: 0
    .wavefront_size: 32
    .workgroup_processor_mode: 1
  - .args:
      - .address_space:  global
        .offset:         0
        .size:           8
        .value_kind:     global_buffer
      - .address_space:  global
        .offset:         8
        .size:           8
        .value_kind:     global_buffer
      - .address_space:  global
        .offset:         16
        .size:           8
        .value_kind:     global_buffer
      - .address_space:  global
        .offset:         24
        .size:           8
        .value_kind:     global_buffer
      - .address_space:  global
        .offset:         32
        .size:           8
        .value_kind:     global_buffer
      - .offset:         40
        .size:           1
        .value_kind:     by_value
      - .offset:         44
        .size:           4
        .value_kind:     by_value
      - .offset:         48
        .size:           4
        .value_kind:     by_value
      - .offset:         52
        .size:           4
        .value_kind:     by_value
      - .offset:         56
        .size:           8
        .value_kind:     by_value
      - .offset:         64
        .size:           4
        .value_kind:     hidden_block_count_x
      - .offset:         68
        .size:           4
        .value_kind:     hidden_block_count_y
      - .offset:         72
        .size:           4
        .value_kind:     hidden_block_count_z
      - .offset:         76
        .size:           2
        .value_kind:     hidden_group_size_x
      - .offset:         78
        .size:           2
        .value_kind:     hidden_group_size_y
      - .offset:         80
        .size:           2
        .value_kind:     hidden_group_size_z
      - .offset:         82
        .size:           2
        .value_kind:     hidden_remainder_x
      - .offset:         84
        .size:           2
        .value_kind:     hidden_remainder_y
      - .offset:         86
        .size:           2
        .value_kind:     hidden_remainder_z
      - .offset:         104
        .size:           8
        .value_kind:     hidden_global_offset_x
      - .offset:         112
        .size:           8
        .value_kind:     hidden_global_offset_y
      - .offset:         120
        .size:           8
        .value_kind:     hidden_global_offset_z
      - .offset:         128
        .size:           2
        .value_kind:     hidden_grid_dims
    .group_segment_fixed_size: 0
    .kernarg_segment_align: 8
    .kernarg_segment_size: 320
    .language:       OpenCL C
    .language_version:
      - 2
      - 0
    .max_flat_workgroup_size: 1024
    .name:           _ZN2at6native12_GLOBAL__N_126nll_loss2d_backward_kernelIN3c108BFloat16EEEvPT_PKS5_PKlS8_S8_biiil
    .private_segment_fixed_size: 0
    .sgpr_count:     31
    .sgpr_spill_count: 0
    .symbol:         _ZN2at6native12_GLOBAL__N_126nll_loss2d_backward_kernelIN3c108BFloat16EEEvPT_PKS5_PKlS8_S8_biiil.kd
    .uniform_work_group_size: 1
    .uses_dynamic_stack: false
    .vgpr_count:     10
    .vgpr_spill_count: 0
    .wavefront_size: 32
    .workgroup_processor_mode: 1
amdhsa.target:   amdgcn-amd-amdhsa--gfx1100
amdhsa.version:
  - 1
  - 2
...

	.end_amdgpu_metadata
